;; amdgpu-corpus repo=zjin-lcf/HeCBench kind=compiled arch=gfx1250 opt=O3
	.amdgcn_target "amdgcn-amd-amdhsa--gfx1250"
	.amdhsa_code_object_version 6
	.section	.text._Z23bitPackConfigScanKernelIccEvPT_S1_PKT0_PKm,"axG",@progbits,_Z23bitPackConfigScanKernelIccEvPT_S1_PKT0_PKm,comdat
	.protected	_Z23bitPackConfigScanKernelIccEvPT_S1_PKT0_PKm ; -- Begin function _Z23bitPackConfigScanKernelIccEvPT_S1_PKT0_PKm
	.globl	_Z23bitPackConfigScanKernelIccEvPT_S1_PKT0_PKm
	.p2align	8
	.type	_Z23bitPackConfigScanKernelIccEvPT_S1_PKT0_PKm,@function
_Z23bitPackConfigScanKernelIccEvPT_S1_PKT0_PKm: ; @_Z23bitPackConfigScanKernelIccEvPT_S1_PKT0_PKm
; %bb.0:
	s_load_b256 s[4:11], s[0:1], 0x0
	s_wait_kmcnt 0x0
	s_load_b64 s[2:3], s[10:11], 0x0
	s_wait_kmcnt 0x0
	s_and_b64 s[10:11], s[2:3], 0xff
	s_lshr_b64 s[12:13], s[2:3], 8
	s_cmp_lg_u64 s[10:11], 0
	s_cselect_b32 s3, -1, 0
	s_delay_alu instid0(SALU_CYCLE_1)
	s_cmp_lg_u32 s3, 0
	s_add_co_ci_u32 s10, s12, 0
	s_bfe_u32 s3, ttmp6, 0x4000c
	s_and_b32 s11, ttmp6, 15
	s_add_co_i32 s3, s3, 1
	s_getreg_b32 s12, hwreg(HW_REG_IB_STS2, 6, 4)
	s_mul_i32 s3, ttmp9, s3
	s_delay_alu instid0(SALU_CYCLE_1) | instskip(SKIP_2) | instid1(SALU_CYCLE_1)
	s_add_co_i32 s11, s11, s3
	s_cmp_eq_u32 s12, 0
	s_cselect_b32 s3, ttmp9, s11
	s_cmp_ge_u32 s3, s10
	s_cbranch_scc1 .LBB0_82
; %bb.1:
	s_cmp_lt_i32 s3, s10
	s_cbranch_scc1 .LBB0_83
; %bb.2:
	s_cbranch_execz .LBB0_84
; %bb.3:
	v_dual_mov_b32 v1, 0 :: v_dual_mov_b32 v2, 0
	s_mov_b32 s1, 0
.LBB0_4:
	ds_store_b8 v0, v1 offset:256
	ds_store_b8 v0, v2
	v_cmp_lt_u32_e32 vcc_lo, 0x7f, v0
	v_add_nc_u32_e32 v1, 0xffffff80, v0
	s_wait_dscnt 0x0
	s_barrier_signal -1
	s_barrier_wait -1
	s_and_saveexec_b32 s0, vcc_lo
	s_delay_alu instid0(SALU_CYCLE_1)
	s_xor_b32 s2, exec_lo, s0
	s_cbranch_execz .LBB0_8
; %bb.5:
	s_mov_b32 s8, exec_lo
	v_cmpx_gt_i32_e64 s1, v0
	s_cbranch_execz .LBB0_7
; %bb.6:
	ds_load_i8 v2, v1
	ds_load_i8 v3, v0
	s_wait_dscnt 0x0
	v_max_i16 v2, v2, v3
	ds_store_b8 v1, v2
.LBB0_7:
	s_or_b32 exec_lo, exec_lo, s8
.LBB0_8:
	s_and_not1_saveexec_b32 s2, s2
	s_cbranch_execz .LBB0_12
; %bb.9:
	v_or_b32_e32 v2, 0x80, v0
	s_mov_b32 s8, exec_lo
	s_delay_alu instid0(VALU_DEP_1)
	v_cmpx_gt_i32_e64 s1, v2
	s_cbranch_execz .LBB0_11
; %bb.10:
	ds_load_i8 v2, v0 offset:256
	ds_load_i8 v3, v0 offset:384
	s_wait_dscnt 0x0
	v_min_i16 v2, v2, v3
	ds_store_b8 v0, v2 offset:256
.LBB0_11:
	s_or_b32 exec_lo, exec_lo, s8
.LBB0_12:
	s_delay_alu instid0(SALU_CYCLE_1) | instskip(SKIP_4) | instid1(SALU_CYCLE_1)
	s_or_b32 exec_lo, exec_lo, s2
	s_wait_dscnt 0x0
	s_barrier_signal -1
	s_barrier_wait -1
	s_and_saveexec_b32 s0, vcc_lo
	s_xor_b32 s2, exec_lo, s0
	s_cbranch_execz .LBB0_17
; %bb.13:
	s_mov_b32 s8, exec_lo
	v_cmpx_gt_u32_e32 0xc0, v0
	s_cbranch_execz .LBB0_16
; %bb.14:
	v_subrev_nc_u32_e32 v2, 64, v0
	s_delay_alu instid0(VALU_DEP_1)
	v_cmp_gt_i32_e64 s0, s1, v2
	s_and_b32 exec_lo, exec_lo, s0
	s_cbranch_execz .LBB0_16
; %bb.15:
	ds_load_i8 v3, v1
	ds_load_i8 v2, v2
	s_wait_dscnt 0x0
	v_max_i16 v2, v3, v2
	ds_store_b8 v1, v2
.LBB0_16:
	s_or_b32 exec_lo, exec_lo, s8
.LBB0_17:
	s_and_not1_saveexec_b32 s2, s2
	s_cbranch_execz .LBB0_22
; %bb.18:
	s_mov_b32 s8, exec_lo
	v_cmpx_gt_u32_e32 64, v0
	s_cbranch_execz .LBB0_21
; %bb.19:
	v_or_b32_e32 v2, 64, v0
	s_delay_alu instid0(VALU_DEP_1)
	v_cmp_gt_i32_e64 s0, s1, v2
	s_and_b32 exec_lo, exec_lo, s0
	s_cbranch_execz .LBB0_21
; %bb.20:
	ds_load_i8 v2, v0 offset:256
	ds_load_i8 v3, v0 offset:320
	s_wait_dscnt 0x0
	v_min_i16 v2, v2, v3
	ds_store_b8 v0, v2 offset:256
.LBB0_21:
	s_or_b32 exec_lo, exec_lo, s8
.LBB0_22:
	s_delay_alu instid0(SALU_CYCLE_1) | instskip(SKIP_4) | instid1(SALU_CYCLE_1)
	s_or_b32 exec_lo, exec_lo, s2
	s_wait_dscnt 0x0
	s_barrier_signal -1
	s_barrier_wait -1
	s_and_saveexec_b32 s0, vcc_lo
	s_xor_b32 s2, exec_lo, s0
	s_cbranch_execz .LBB0_27
; %bb.23:
	s_mov_b32 s8, exec_lo
	v_cmpx_gt_u32_e32 0xa0, v0
	s_cbranch_execz .LBB0_26
; %bb.24:
	v_add_nc_u32_e32 v2, 0xffffffa0, v0
	s_delay_alu instid0(VALU_DEP_1)
	v_cmp_gt_i32_e64 s0, s1, v2
	s_and_b32 exec_lo, exec_lo, s0
	s_cbranch_execz .LBB0_26
; %bb.25:
	ds_load_i8 v3, v1
	ds_load_i8 v2, v2
	s_wait_dscnt 0x0
	v_max_i16 v2, v3, v2
	ds_store_b8 v1, v2
.LBB0_26:
	s_or_b32 exec_lo, exec_lo, s8
.LBB0_27:
	s_and_not1_saveexec_b32 s2, s2
	s_cbranch_execz .LBB0_32
; %bb.28:
	s_mov_b32 s8, exec_lo
	v_cmpx_gt_u32_e32 32, v0
	s_cbranch_execz .LBB0_31
; %bb.29:
	v_or_b32_e32 v2, 32, v0
	s_delay_alu instid0(VALU_DEP_1)
	v_cmp_gt_i32_e64 s0, s1, v2
	s_and_b32 exec_lo, exec_lo, s0
	s_cbranch_execz .LBB0_31
; %bb.30:
	ds_load_i8 v2, v0 offset:256
	ds_load_i8 v3, v0 offset:288
	s_wait_dscnt 0x0
	v_min_i16 v2, v2, v3
	ds_store_b8 v0, v2 offset:256
.LBB0_31:
	s_or_b32 exec_lo, exec_lo, s8
.LBB0_32:
	s_delay_alu instid0(SALU_CYCLE_1) | instskip(SKIP_4) | instid1(SALU_CYCLE_1)
	s_or_b32 exec_lo, exec_lo, s2
	s_wait_dscnt 0x0
	s_barrier_signal -1
	s_barrier_wait -1
	s_and_saveexec_b32 s0, vcc_lo
	s_xor_b32 s2, exec_lo, s0
	s_cbranch_execz .LBB0_37
; %bb.33:
	s_mov_b32 s8, exec_lo
	v_cmpx_gt_u32_e32 0x90, v0
	s_cbranch_execz .LBB0_36
; %bb.34:
	v_add_nc_u32_e32 v2, 0xffffff90, v0
	s_delay_alu instid0(VALU_DEP_1)
	v_cmp_gt_i32_e64 s0, s1, v2
	s_and_b32 exec_lo, exec_lo, s0
	s_cbranch_execz .LBB0_36
; %bb.35:
	ds_load_i8 v3, v1
	ds_load_i8 v2, v2
	s_wait_dscnt 0x0
	v_max_i16 v2, v3, v2
	ds_store_b8 v1, v2
.LBB0_36:
	s_or_b32 exec_lo, exec_lo, s8
.LBB0_37:
	;; [unrolled: 48-line block ×5, first 2 shown]
	s_and_not1_saveexec_b32 s2, s2
	s_cbranch_execz .LBB0_72
; %bb.68:
	s_mov_b32 s8, exec_lo
	v_cmpx_gt_u32_e32 2, v0
	s_cbranch_execz .LBB0_71
; %bb.69:
	v_or_b32_e32 v2, 2, v0
	s_delay_alu instid0(VALU_DEP_1)
	v_cmp_gt_i32_e64 s0, s1, v2
	s_and_b32 exec_lo, exec_lo, s0
	s_cbranch_execz .LBB0_71
; %bb.70:
	ds_load_i8 v2, v0 offset:256
	ds_load_i8 v3, v0 offset:258
	s_wait_dscnt 0x0
	v_min_i16 v2, v2, v3
	ds_store_b8 v0, v2 offset:256
.LBB0_71:
	s_or_b32 exec_lo, exec_lo, s8
.LBB0_72:
	s_delay_alu instid0(SALU_CYCLE_1)
	s_or_b32 exec_lo, exec_lo, s2
	s_cmp_gt_i32 s1, 1
	s_wait_dscnt 0x0
	s_cselect_b32 s0, -1, 0
	s_barrier_signal -1
	s_barrier_wait -1
	s_and_saveexec_b32 s1, vcc_lo
	s_delay_alu instid0(SALU_CYCLE_1)
	s_xor_b32 s1, exec_lo, s1
	s_cbranch_execz .LBB0_76
; %bb.73:
	v_cmp_eq_u32_e32 vcc_lo, 0x80, v0
	s_and_b32 s8, vcc_lo, s0
	s_delay_alu instid0(SALU_CYCLE_1)
	s_and_saveexec_b32 s2, s8
	s_cbranch_execz .LBB0_75
; %bb.74:
	v_mov_b32_e32 v2, 0
	ds_load_i8 v3, v1
	ds_load_i8 v2, v2 offset:1
	s_wait_dscnt 0x0
	v_max_i16 v2, v3, v2
	ds_store_b8 v1, v2
.LBB0_75:
	s_or_b32 exec_lo, exec_lo, s2
.LBB0_76:
	s_and_not1_saveexec_b32 s1, s1
	s_cbranch_execz .LBB0_80
; %bb.77:
	v_cmp_eq_u32_e32 vcc_lo, 0, v0
	s_and_b32 s2, vcc_lo, s0
	s_delay_alu instid0(SALU_CYCLE_1)
	s_and_saveexec_b32 s0, s2
	s_cbranch_execz .LBB0_79
; %bb.78:
	v_mov_b32_e32 v1, 0
	ds_load_i8 v2, v0 offset:256
	ds_load_i8 v1, v1 offset:257
	s_wait_dscnt 0x0
	v_min_i16 v1, v2, v1
	ds_store_b8 v0, v1 offset:256
.LBB0_79:
	s_or_b32 exec_lo, exec_lo, s0
.LBB0_80:
	s_delay_alu instid0(SALU_CYCLE_1)
	s_or_b32 exec_lo, exec_lo, s1
	s_wait_dscnt 0x0
	s_barrier_signal -1
	s_barrier_wait -1
	s_mov_b32 s0, exec_lo
	v_cmpx_eq_u32_e32 0, v0
	s_cbranch_execz .LBB0_82
; %bb.81:
	v_dual_mov_b32 v0, 0 :: v_dual_mov_b32 v2, s3
	ds_load_u8 v1, v0 offset:256
	ds_load_u8 v0, v0
	s_wait_dscnt 0x1
	global_store_b8 v2, v1, s[4:5]
	s_wait_dscnt 0x0
	global_store_b8 v2, v0, s[6:7]
.LBB0_82:
	s_endpgm
.LBB0_83:
.LBB0_84:
	s_load_b32 s0, s[0:1], 0x20
	s_wait_xcnt 0x0
	s_lshl_b32 s1, s3, 8
	v_dual_mov_b32 v1, 0 :: v_dual_mov_b32 v2, 0
	v_add_nc_u32_e32 v3, s1, v0
	s_mov_b32 s11, 0
	s_sub_co_i32 s2, s2, s1
	s_mov_b32 s1, 0
	s_wait_kmcnt 0x0
	s_lshl_b32 s12, s0, 8
	s_branch .LBB0_86
.LBB0_85:                               ;   in Loop: Header=BB0_86 Depth=1
	s_or_b32 exec_lo, exec_lo, s14
	s_add_co_i32 s11, s11, s0
	v_add_nc_u32_e32 v3, s12, v3
	s_max_i32 s1, s1, s13
	s_add_co_i32 s13, s3, s11
	s_sub_co_i32 s2, s2, s12
	s_cmp_ge_i32 s13, s10
	s_cbranch_scc1 .LBB0_4
.LBB0_86:                               ; =>This Inner Loop Header: Depth=1
	s_min_i32 s13, s2, 0x100
	s_mov_b32 s14, exec_lo
	v_cmpx_gt_u32_e64 s13, v0
	s_cbranch_execz .LBB0_85
; %bb.87:                               ;   in Loop: Header=BB0_86 Depth=1
	global_load_i8 v4, v3, s[8:9]
	v_bfe_i32 v2, v2, 0, 8
	v_bfe_i32 v1, v1, 0, 8
	s_cmp_eq_u32 s11, 0
	s_cselect_b32 vcc_lo, -1, 0
	s_wait_loadcnt 0x0
	v_max_i16 v2, v4, v2
	v_min_i16 v1, v4, v1
	s_delay_alu instid0(VALU_DEP_1)
	v_dual_cndmask_b32 v2, v2, v4 :: v_dual_cndmask_b32 v1, v1, v4
	s_branch .LBB0_85
	.section	.rodata,"a",@progbits
	.p2align	6, 0x0
	.amdhsa_kernel _Z23bitPackConfigScanKernelIccEvPT_S1_PKT0_PKm
		.amdhsa_group_segment_fixed_size 512
		.amdhsa_private_segment_fixed_size 0
		.amdhsa_kernarg_size 288
		.amdhsa_user_sgpr_count 2
		.amdhsa_user_sgpr_dispatch_ptr 0
		.amdhsa_user_sgpr_queue_ptr 0
		.amdhsa_user_sgpr_kernarg_segment_ptr 1
		.amdhsa_user_sgpr_dispatch_id 0
		.amdhsa_user_sgpr_kernarg_preload_length 0
		.amdhsa_user_sgpr_kernarg_preload_offset 0
		.amdhsa_user_sgpr_private_segment_size 0
		.amdhsa_wavefront_size32 1
		.amdhsa_uses_dynamic_stack 0
		.amdhsa_enable_private_segment 0
		.amdhsa_system_sgpr_workgroup_id_x 1
		.amdhsa_system_sgpr_workgroup_id_y 0
		.amdhsa_system_sgpr_workgroup_id_z 0
		.amdhsa_system_sgpr_workgroup_info 0
		.amdhsa_system_vgpr_workitem_id 0
		.amdhsa_next_free_vgpr 5
		.amdhsa_next_free_sgpr 15
		.amdhsa_named_barrier_count 0
		.amdhsa_reserve_vcc 1
		.amdhsa_float_round_mode_32 0
		.amdhsa_float_round_mode_16_64 0
		.amdhsa_float_denorm_mode_32 3
		.amdhsa_float_denorm_mode_16_64 3
		.amdhsa_fp16_overflow 0
		.amdhsa_memory_ordered 1
		.amdhsa_forward_progress 1
		.amdhsa_inst_pref_size 16
		.amdhsa_round_robin_scheduling 0
		.amdhsa_exception_fp_ieee_invalid_op 0
		.amdhsa_exception_fp_denorm_src 0
		.amdhsa_exception_fp_ieee_div_zero 0
		.amdhsa_exception_fp_ieee_overflow 0
		.amdhsa_exception_fp_ieee_underflow 0
		.amdhsa_exception_fp_ieee_inexact 0
		.amdhsa_exception_int_div_zero 0
	.end_amdhsa_kernel
	.section	.text._Z23bitPackConfigScanKernelIccEvPT_S1_PKT0_PKm,"axG",@progbits,_Z23bitPackConfigScanKernelIccEvPT_S1_PKT0_PKm,comdat
.Lfunc_end0:
	.size	_Z23bitPackConfigScanKernelIccEvPT_S1_PKT0_PKm, .Lfunc_end0-_Z23bitPackConfigScanKernelIccEvPT_S1_PKT0_PKm
                                        ; -- End function
	.set _Z23bitPackConfigScanKernelIccEvPT_S1_PKT0_PKm.num_vgpr, 5
	.set _Z23bitPackConfigScanKernelIccEvPT_S1_PKT0_PKm.num_agpr, 0
	.set _Z23bitPackConfigScanKernelIccEvPT_S1_PKT0_PKm.numbered_sgpr, 15
	.set _Z23bitPackConfigScanKernelIccEvPT_S1_PKT0_PKm.num_named_barrier, 0
	.set _Z23bitPackConfigScanKernelIccEvPT_S1_PKT0_PKm.private_seg_size, 0
	.set _Z23bitPackConfigScanKernelIccEvPT_S1_PKT0_PKm.uses_vcc, 1
	.set _Z23bitPackConfigScanKernelIccEvPT_S1_PKT0_PKm.uses_flat_scratch, 0
	.set _Z23bitPackConfigScanKernelIccEvPT_S1_PKT0_PKm.has_dyn_sized_stack, 0
	.set _Z23bitPackConfigScanKernelIccEvPT_S1_PKT0_PKm.has_recursion, 0
	.set _Z23bitPackConfigScanKernelIccEvPT_S1_PKT0_PKm.has_indirect_call, 0
	.section	.AMDGPU.csdata,"",@progbits
; Kernel info:
; codeLenInByte = 1976
; TotalNumSgprs: 17
; NumVgprs: 5
; ScratchSize: 0
; MemoryBound: 0
; FloatMode: 240
; IeeeMode: 1
; LDSByteSize: 512 bytes/workgroup (compile time only)
; SGPRBlocks: 0
; VGPRBlocks: 0
; NumSGPRsForWavesPerEU: 17
; NumVGPRsForWavesPerEU: 5
; NamedBarCnt: 0
; Occupancy: 16
; WaveLimiterHint : 0
; COMPUTE_PGM_RSRC2:SCRATCH_EN: 0
; COMPUTE_PGM_RSRC2:USER_SGPR: 2
; COMPUTE_PGM_RSRC2:TRAP_HANDLER: 0
; COMPUTE_PGM_RSRC2:TGID_X_EN: 1
; COMPUTE_PGM_RSRC2:TGID_Y_EN: 0
; COMPUTE_PGM_RSRC2:TGID_Z_EN: 0
; COMPUTE_PGM_RSRC2:TIDIG_COMP_CNT: 0
	.section	.text._Z27bitPackConfigFinalizeKernelIccEvPKT_S2_PhPT0_PKm,"axG",@progbits,_Z27bitPackConfigFinalizeKernelIccEvPKT_S2_PhPT0_PKm,comdat
	.protected	_Z27bitPackConfigFinalizeKernelIccEvPKT_S2_PhPT0_PKm ; -- Begin function _Z27bitPackConfigFinalizeKernelIccEvPKT_S2_PhPT0_PKm
	.globl	_Z27bitPackConfigFinalizeKernelIccEvPKT_S2_PhPT0_PKm
	.p2align	8
	.type	_Z27bitPackConfigFinalizeKernelIccEvPKT_S2_PhPT0_PKm,@function
_Z27bitPackConfigFinalizeKernelIccEvPKT_S2_PhPT0_PKm: ; @_Z27bitPackConfigFinalizeKernelIccEvPKT_S2_PhPT0_PKm
; %bb.0:
	s_load_b64 s[2:3], s[0:1], 0x20
	s_wait_kmcnt 0x0
	s_load_b64 s[2:3], s[2:3], 0x0
	s_wait_kmcnt 0x0
	s_and_b64 s[4:5], s[2:3], 0xff
	s_lshr_b64 s[2:3], s[2:3], 8
	s_cmp_lg_u64 s[4:5], 0
	s_mov_b32 s4, 0
	s_cselect_b32 s5, -1, 0
	v_mov_b32_e32 v3, s4
	v_cndmask_b32_e64 v2, 0, 1, s5
	s_load_b256 s[4:11], s[0:1], 0x0
	s_wait_xcnt 0x0
	s_mov_b32 s1, exec_lo
	s_delay_alu instid0(VALU_DEP_1) | instskip(NEXT) | instid1(VALU_DEP_1)
	v_add_nc_u64_e32 v[2:3], s[2:3], v[2:3]
	v_min_u64 v[4:5], 0x1000, v[2:3]
	s_delay_alu instid0(VALU_DEP_1)
	v_cmpx_lt_u32_e64 v0, v4
	s_cbranch_execz .LBB1_6
; %bb.1:
	s_wait_kmcnt 0x0
	s_clause 0x1
	global_load_u8 v8, v0, s[4:5]
	global_load_u8 v5, v0, s[6:7]
	v_add_nc_u32_e32 v1, 0x100, v0
	s_mov_b32 s12, exec_lo
	s_wait_xcnt 0x0
	s_delay_alu instid0(VALU_DEP_1)
	v_cmpx_lt_u32_e64 v1, v4
	s_cbranch_execz .LBB1_5
; %bb.2:
	v_mov_b32_e32 v1, 0
	s_add_nc_u64 s[2:3], s[4:5], 0x100
	s_add_nc_u64 s[4:5], s[6:7], 0x100
	s_mov_b32 s6, 0
	s_delay_alu instid0(VALU_DEP_1)
	v_mov_b64_e32 v[6:7], v[0:1]
.LBB1_3:                                ; =>This Inner Loop Header: Depth=1
	s_delay_alu instid0(VALU_DEP_1)
	v_add_nc_u64_e32 v[10:11], s[2:3], v[6:7]
	v_add_nc_u64_e32 v[12:13], s[4:5], v[6:7]
	s_wait_loadcnt 0x1
	v_bfe_i32 v8, v8, 0, 8
	s_wait_loadcnt 0x0
	v_bfe_i32 v5, v5, 0, 8
	global_load_i8 v1, v[10:11], off
	global_load_i8 v9, v[12:13], off
	s_wait_xcnt 0x1
	v_add_nc_u64_e32 v[10:11], 0x100, v[6:7]
	v_add_nc_u32_e32 v6, 0x200, v6
	s_delay_alu instid0(VALU_DEP_1) | instskip(NEXT) | instid1(VALU_DEP_3)
	v_cmp_ge_u32_e32 vcc_lo, v6, v4
	v_cmp_lt_u32_e64 s0, 0xeff, v10
	s_delay_alu instid0(VALU_DEP_4) | instskip(SKIP_1) | instid1(SALU_CYCLE_1)
	v_mov_b64_e32 v[6:7], v[10:11]
	s_or_b32 s0, s0, vcc_lo
	s_and_b32 s0, exec_lo, s0
	s_delay_alu instid0(SALU_CYCLE_1)
	s_or_b32 s6, s0, s6
	s_wait_loadcnt 0x1
	v_min_i16 v8, v1, v8
	s_wait_loadcnt 0x0
	v_max_i16 v5, v9, v5
	s_and_not1_b32 exec_lo, exec_lo, s6
	s_cbranch_execnz .LBB1_3
; %bb.4:
	s_or_b32 exec_lo, exec_lo, s6
.LBB1_5:
	s_delay_alu instid0(SALU_CYCLE_1)
	s_or_b32 exec_lo, exec_lo, s12
	s_wait_loadcnt 0x1
	ds_store_b8 v0, v8 offset:256
	s_wait_loadcnt 0x0
	ds_store_b8 v0, v5
.LBB1_6:
	s_or_b32 exec_lo, exec_lo, s1
	v_min_u32_e32 v4, 0x100, v4
	v_cmp_lt_u32_e32 vcc_lo, 0x7f, v0
	v_add_nc_u32_e32 v1, 0xffffff80, v0
	s_wait_dscnt 0x0
	s_barrier_signal -1
	s_barrier_wait -1
	s_and_saveexec_b32 s0, vcc_lo
	s_delay_alu instid0(SALU_CYCLE_1)
	s_xor_b32 s1, exec_lo, s0
	s_cbranch_execz .LBB1_10
; %bb.7:
	s_mov_b32 s2, exec_lo
	v_cmpx_lt_u32_e64 v0, v4
	s_cbranch_execz .LBB1_9
; %bb.8:
	ds_load_i8 v5, v1
	ds_load_i8 v6, v0
	s_wait_dscnt 0x0
	v_max_i16 v5, v5, v6
	ds_store_b8 v1, v5
.LBB1_9:
	s_or_b32 exec_lo, exec_lo, s2
.LBB1_10:
	s_and_not1_saveexec_b32 s1, s1
	s_cbranch_execz .LBB1_14
; %bb.11:
	v_or_b32_e32 v5, 0x80, v0
	s_mov_b32 s2, exec_lo
	s_delay_alu instid0(VALU_DEP_1)
	v_cmpx_lt_u32_e64 v5, v4
	s_cbranch_execz .LBB1_13
; %bb.12:
	ds_load_i8 v5, v0 offset:256
	ds_load_i8 v6, v0 offset:384
	s_wait_dscnt 0x0
	v_min_i16 v5, v5, v6
	ds_store_b8 v0, v5 offset:256
.LBB1_13:
	s_or_b32 exec_lo, exec_lo, s2
.LBB1_14:
	s_delay_alu instid0(SALU_CYCLE_1) | instskip(SKIP_4) | instid1(SALU_CYCLE_1)
	s_or_b32 exec_lo, exec_lo, s1
	s_wait_dscnt 0x0
	s_barrier_signal -1
	s_barrier_wait -1
	s_and_saveexec_b32 s0, vcc_lo
	s_xor_b32 s1, exec_lo, s0
	s_cbranch_execz .LBB1_19
; %bb.15:
	s_mov_b32 s2, exec_lo
	v_cmpx_gt_u32_e32 0xc0, v0
	s_cbranch_execz .LBB1_18
; %bb.16:
	v_subrev_nc_u32_e32 v5, 64, v0
	s_delay_alu instid0(VALU_DEP_1)
	v_cmp_lt_u32_e64 s0, v5, v4
	s_and_b32 exec_lo, exec_lo, s0
	s_cbranch_execz .LBB1_18
; %bb.17:
	ds_load_i8 v6, v1
	ds_load_i8 v5, v5
	s_wait_dscnt 0x0
	v_max_i16 v5, v6, v5
	ds_store_b8 v1, v5
.LBB1_18:
	s_or_b32 exec_lo, exec_lo, s2
.LBB1_19:
	s_and_not1_saveexec_b32 s1, s1
	s_cbranch_execz .LBB1_24
; %bb.20:
	s_mov_b32 s2, exec_lo
	v_cmpx_gt_u32_e32 64, v0
	s_cbranch_execz .LBB1_23
; %bb.21:
	v_or_b32_e32 v5, 64, v0
	s_delay_alu instid0(VALU_DEP_1)
	v_cmp_lt_u32_e64 s0, v5, v4
	s_and_b32 exec_lo, exec_lo, s0
	s_cbranch_execz .LBB1_23
; %bb.22:
	ds_load_i8 v5, v0 offset:256
	ds_load_i8 v6, v0 offset:320
	s_wait_dscnt 0x0
	v_min_i16 v5, v5, v6
	ds_store_b8 v0, v5 offset:256
.LBB1_23:
	s_or_b32 exec_lo, exec_lo, s2
.LBB1_24:
	s_delay_alu instid0(SALU_CYCLE_1) | instskip(SKIP_4) | instid1(SALU_CYCLE_1)
	s_or_b32 exec_lo, exec_lo, s1
	s_wait_dscnt 0x0
	s_barrier_signal -1
	s_barrier_wait -1
	s_and_saveexec_b32 s0, vcc_lo
	s_xor_b32 s1, exec_lo, s0
	s_cbranch_execz .LBB1_29
; %bb.25:
	s_mov_b32 s2, exec_lo
	v_cmpx_gt_u32_e32 0xa0, v0
	s_cbranch_execz .LBB1_28
; %bb.26:
	v_add_nc_u32_e32 v5, 0xffffffa0, v0
	s_delay_alu instid0(VALU_DEP_1)
	v_cmp_lt_u32_e64 s0, v5, v4
	s_and_b32 exec_lo, exec_lo, s0
	s_cbranch_execz .LBB1_28
; %bb.27:
	ds_load_i8 v6, v1
	ds_load_i8 v5, v5
	s_wait_dscnt 0x0
	v_max_i16 v5, v6, v5
	ds_store_b8 v1, v5
.LBB1_28:
	s_or_b32 exec_lo, exec_lo, s2
.LBB1_29:
	s_and_not1_saveexec_b32 s1, s1
	s_cbranch_execz .LBB1_34
; %bb.30:
	s_mov_b32 s2, exec_lo
	v_cmpx_gt_u32_e32 32, v0
	s_cbranch_execz .LBB1_33
; %bb.31:
	v_or_b32_e32 v5, 32, v0
	s_delay_alu instid0(VALU_DEP_1)
	v_cmp_lt_u32_e64 s0, v5, v4
	s_and_b32 exec_lo, exec_lo, s0
	s_cbranch_execz .LBB1_33
; %bb.32:
	ds_load_i8 v5, v0 offset:256
	ds_load_i8 v6, v0 offset:288
	s_wait_dscnt 0x0
	v_min_i16 v5, v5, v6
	ds_store_b8 v0, v5 offset:256
.LBB1_33:
	s_or_b32 exec_lo, exec_lo, s2
.LBB1_34:
	s_delay_alu instid0(SALU_CYCLE_1) | instskip(SKIP_4) | instid1(SALU_CYCLE_1)
	s_or_b32 exec_lo, exec_lo, s1
	s_wait_dscnt 0x0
	s_barrier_signal -1
	s_barrier_wait -1
	s_and_saveexec_b32 s0, vcc_lo
	s_xor_b32 s1, exec_lo, s0
	s_cbranch_execz .LBB1_39
; %bb.35:
	s_mov_b32 s2, exec_lo
	v_cmpx_gt_u32_e32 0x90, v0
	s_cbranch_execz .LBB1_38
; %bb.36:
	v_add_nc_u32_e32 v5, 0xffffff90, v0
	s_delay_alu instid0(VALU_DEP_1)
	v_cmp_lt_u32_e64 s0, v5, v4
	s_and_b32 exec_lo, exec_lo, s0
	s_cbranch_execz .LBB1_38
; %bb.37:
	ds_load_i8 v6, v1
	ds_load_i8 v5, v5
	s_wait_dscnt 0x0
	v_max_i16 v5, v6, v5
	ds_store_b8 v1, v5
.LBB1_38:
	s_or_b32 exec_lo, exec_lo, s2
.LBB1_39:
	;; [unrolled: 48-line block ×4, first 2 shown]
	s_and_not1_saveexec_b32 s1, s1
	s_cbranch_execz .LBB1_64
; %bb.60:
	s_mov_b32 s2, exec_lo
	v_cmpx_gt_u32_e32 4, v0
	s_cbranch_execz .LBB1_63
; %bb.61:
	v_or_b32_e32 v5, 4, v0
	s_delay_alu instid0(VALU_DEP_1)
	v_cmp_lt_u32_e64 s0, v5, v4
	s_and_b32 exec_lo, exec_lo, s0
	s_cbranch_execz .LBB1_63
; %bb.62:
	ds_load_i8 v5, v0 offset:256
	ds_load_i8 v6, v0 offset:260
	s_wait_dscnt 0x0
	v_min_i16 v5, v5, v6
	ds_store_b8 v0, v5 offset:256
.LBB1_63:
	s_or_b32 exec_lo, exec_lo, s2
.LBB1_64:
	s_delay_alu instid0(SALU_CYCLE_1) | instskip(SKIP_4) | instid1(SALU_CYCLE_1)
	s_or_b32 exec_lo, exec_lo, s1
	s_wait_dscnt 0x0
	s_barrier_signal -1
	s_barrier_wait -1
	s_and_saveexec_b32 s0, vcc_lo
	s_xor_b32 s1, exec_lo, s0
	s_cbranch_execz .LBB1_69
; %bb.65:
	s_mov_b32 s2, exec_lo
	v_cmpx_gt_u32_e32 0x82, v0
	s_cbranch_execz .LBB1_68
; %bb.66:
	v_add_nc_u32_e32 v5, 0xffffff82, v0
	s_delay_alu instid0(VALU_DEP_1)
	v_cmp_lt_u32_e64 s0, v5, v4
	s_and_b32 exec_lo, exec_lo, s0
	s_cbranch_execz .LBB1_68
; %bb.67:
	ds_load_i8 v4, v1
	ds_load_i8 v5, v5
	s_wait_dscnt 0x0
	v_max_i16 v4, v4, v5
	ds_store_b8 v1, v4
.LBB1_68:
	s_or_b32 exec_lo, exec_lo, s2
                                        ; implicit-def: $vgpr4
.LBB1_69:
	s_and_not1_saveexec_b32 s1, s1
	s_cbranch_execz .LBB1_74
; %bb.70:
	s_mov_b32 s2, exec_lo
	v_cmpx_gt_u32_e32 2, v0
	s_cbranch_execz .LBB1_73
; %bb.71:
	v_or_b32_e32 v5, 2, v0
	s_delay_alu instid0(VALU_DEP_1)
	v_cmp_lt_u32_e64 s0, v5, v4
	s_and_b32 exec_lo, exec_lo, s0
	s_cbranch_execz .LBB1_73
; %bb.72:
	ds_load_i8 v4, v0 offset:256
	ds_load_i8 v5, v0 offset:258
	s_wait_dscnt 0x0
	v_min_i16 v4, v4, v5
	ds_store_b8 v0, v4 offset:256
.LBB1_73:
	s_or_b32 exec_lo, exec_lo, s2
.LBB1_74:
	s_delay_alu instid0(SALU_CYCLE_1)
	s_or_b32 exec_lo, exec_lo, s1
	v_cmp_lt_u64_e64 s0, 1, v[2:3]
	s_wait_dscnt 0x0
	s_barrier_signal -1
	s_barrier_wait -1
	s_and_saveexec_b32 s1, vcc_lo
	s_delay_alu instid0(SALU_CYCLE_1)
	s_xor_b32 s1, exec_lo, s1
	s_cbranch_execz .LBB1_78
; %bb.75:
	v_cmp_eq_u32_e32 vcc_lo, 0x80, v0
	s_and_b32 s3, vcc_lo, s0
	s_delay_alu instid0(SALU_CYCLE_1)
	s_and_saveexec_b32 s2, s3
	s_cbranch_execz .LBB1_77
; %bb.76:
	v_mov_b32_e32 v2, 0
	ds_load_i8 v3, v1
	ds_load_i8 v2, v2 offset:1
	s_wait_dscnt 0x0
	v_max_i16 v2, v3, v2
	ds_store_b8 v1, v2
.LBB1_77:
	s_or_b32 exec_lo, exec_lo, s2
.LBB1_78:
	s_and_not1_saveexec_b32 s1, s1
	s_cbranch_execz .LBB1_82
; %bb.79:
	v_cmp_eq_u32_e32 vcc_lo, 0, v0
	s_and_b32 s2, vcc_lo, s0
	s_delay_alu instid0(SALU_CYCLE_1)
	s_and_saveexec_b32 s0, s2
	s_cbranch_execz .LBB1_81
; %bb.80:
	v_mov_b32_e32 v1, 0
	ds_load_i8 v2, v0 offset:256
	ds_load_i8 v1, v1 offset:257
	s_wait_dscnt 0x0
	v_min_i16 v1, v2, v1
	ds_store_b8 v0, v1 offset:256
.LBB1_81:
	s_or_b32 exec_lo, exec_lo, s0
.LBB1_82:
	s_delay_alu instid0(SALU_CYCLE_1)
	s_or_b32 exec_lo, exec_lo, s1
	s_wait_dscnt 0x0
	s_barrier_signal -1
	s_barrier_wait -1
	s_mov_b32 s0, exec_lo
	v_cmpx_eq_u32_e32 0, v0
	s_cbranch_execz .LBB1_84
; %bb.83:
	v_mov_b32_e32 v0, 0
	ds_load_u8 v1, v0 offset:256
	ds_load_i8 v2, v0
	s_wait_dscnt 0x1
	v_bfe_i32 v3, v1, 0, 8
	s_wait_dscnt 0x0
	s_delay_alu instid0(VALU_DEP_1) | instskip(NEXT) | instid1(VALU_DEP_1)
	v_sub_nc_u32_e32 v2, v2, v3
	v_clz_i32_u32_e32 v2, v2
	s_delay_alu instid0(VALU_DEP_1) | instskip(NEXT) | instid1(VALU_DEP_1)
	v_min_u32_e32 v2, 0xffff, v2
	v_sub_nc_u16 v2, 32, v2 clamp
	s_wait_kmcnt 0x0
	s_clause 0x1
	global_store_b8 v0, v1, s[10:11]
	global_store_b8 v0, v2, s[8:9]
.LBB1_84:
	s_endpgm
	.section	.rodata,"a",@progbits
	.p2align	6, 0x0
	.amdhsa_kernel _Z27bitPackConfigFinalizeKernelIccEvPKT_S2_PhPT0_PKm
		.amdhsa_group_segment_fixed_size 512
		.amdhsa_private_segment_fixed_size 0
		.amdhsa_kernarg_size 40
		.amdhsa_user_sgpr_count 2
		.amdhsa_user_sgpr_dispatch_ptr 0
		.amdhsa_user_sgpr_queue_ptr 0
		.amdhsa_user_sgpr_kernarg_segment_ptr 1
		.amdhsa_user_sgpr_dispatch_id 0
		.amdhsa_user_sgpr_kernarg_preload_length 0
		.amdhsa_user_sgpr_kernarg_preload_offset 0
		.amdhsa_user_sgpr_private_segment_size 0
		.amdhsa_wavefront_size32 1
		.amdhsa_uses_dynamic_stack 0
		.amdhsa_enable_private_segment 0
		.amdhsa_system_sgpr_workgroup_id_x 1
		.amdhsa_system_sgpr_workgroup_id_y 0
		.amdhsa_system_sgpr_workgroup_id_z 0
		.amdhsa_system_sgpr_workgroup_info 0
		.amdhsa_system_vgpr_workitem_id 0
		.amdhsa_next_free_vgpr 14
		.amdhsa_next_free_sgpr 13
		.amdhsa_named_barrier_count 0
		.amdhsa_reserve_vcc 1
		.amdhsa_float_round_mode_32 0
		.amdhsa_float_round_mode_16_64 0
		.amdhsa_float_denorm_mode_32 3
		.amdhsa_float_denorm_mode_16_64 3
		.amdhsa_fp16_overflow 0
		.amdhsa_memory_ordered 1
		.amdhsa_forward_progress 1
		.amdhsa_inst_pref_size 17
		.amdhsa_round_robin_scheduling 0
		.amdhsa_exception_fp_ieee_invalid_op 0
		.amdhsa_exception_fp_denorm_src 0
		.amdhsa_exception_fp_ieee_div_zero 0
		.amdhsa_exception_fp_ieee_overflow 0
		.amdhsa_exception_fp_ieee_underflow 0
		.amdhsa_exception_fp_ieee_inexact 0
		.amdhsa_exception_int_div_zero 0
	.end_amdhsa_kernel
	.section	.text._Z27bitPackConfigFinalizeKernelIccEvPKT_S2_PhPT0_PKm,"axG",@progbits,_Z27bitPackConfigFinalizeKernelIccEvPKT_S2_PhPT0_PKm,comdat
.Lfunc_end1:
	.size	_Z27bitPackConfigFinalizeKernelIccEvPKT_S2_PhPT0_PKm, .Lfunc_end1-_Z27bitPackConfigFinalizeKernelIccEvPKT_S2_PhPT0_PKm
                                        ; -- End function
	.set _Z27bitPackConfigFinalizeKernelIccEvPKT_S2_PhPT0_PKm.num_vgpr, 14
	.set _Z27bitPackConfigFinalizeKernelIccEvPKT_S2_PhPT0_PKm.num_agpr, 0
	.set _Z27bitPackConfigFinalizeKernelIccEvPKT_S2_PhPT0_PKm.numbered_sgpr, 13
	.set _Z27bitPackConfigFinalizeKernelIccEvPKT_S2_PhPT0_PKm.num_named_barrier, 0
	.set _Z27bitPackConfigFinalizeKernelIccEvPKT_S2_PhPT0_PKm.private_seg_size, 0
	.set _Z27bitPackConfigFinalizeKernelIccEvPKT_S2_PhPT0_PKm.uses_vcc, 1
	.set _Z27bitPackConfigFinalizeKernelIccEvPKT_S2_PhPT0_PKm.uses_flat_scratch, 0
	.set _Z27bitPackConfigFinalizeKernelIccEvPKT_S2_PhPT0_PKm.has_dyn_sized_stack, 0
	.set _Z27bitPackConfigFinalizeKernelIccEvPKT_S2_PhPT0_PKm.has_recursion, 0
	.set _Z27bitPackConfigFinalizeKernelIccEvPKT_S2_PhPT0_PKm.has_indirect_call, 0
	.section	.AMDGPU.csdata,"",@progbits
; Kernel info:
; codeLenInByte = 2104
; TotalNumSgprs: 15
; NumVgprs: 14
; ScratchSize: 0
; MemoryBound: 0
; FloatMode: 240
; IeeeMode: 1
; LDSByteSize: 512 bytes/workgroup (compile time only)
; SGPRBlocks: 0
; VGPRBlocks: 0
; NumSGPRsForWavesPerEU: 15
; NumVGPRsForWavesPerEU: 14
; NamedBarCnt: 0
; Occupancy: 16
; WaveLimiterHint : 0
; COMPUTE_PGM_RSRC2:SCRATCH_EN: 0
; COMPUTE_PGM_RSRC2:USER_SGPR: 2
; COMPUTE_PGM_RSRC2:TRAP_HANDLER: 0
; COMPUTE_PGM_RSRC2:TGID_X_EN: 1
; COMPUTE_PGM_RSRC2:TGID_Y_EN: 0
; COMPUTE_PGM_RSRC2:TGID_Z_EN: 0
; COMPUTE_PGM_RSRC2:TIDIG_COMP_CNT: 0
	.section	.text._Z13bitPackKernelIcjEvPKhPKT_PT0_S4_PKm,"axG",@progbits,_Z13bitPackKernelIcjEvPKhPKT_PT0_S4_PKm,comdat
	.protected	_Z13bitPackKernelIcjEvPKhPKT_PT0_S4_PKm ; -- Begin function _Z13bitPackKernelIcjEvPKhPKT_PT0_S4_PKm
	.globl	_Z13bitPackKernelIcjEvPKhPKT_PT0_S4_PKm
	.p2align	8
	.type	_Z13bitPackKernelIcjEvPKhPKT_PT0_S4_PKm,@function
_Z13bitPackKernelIcjEvPKhPKT_PT0_S4_PKm: ; @_Z13bitPackKernelIcjEvPKhPKT_PT0_S4_PKm
; %bb.0:
	s_load_b64 s[2:3], s[0:1], 0x20
	s_mov_b32 s13, 0
	s_wait_kmcnt 0x0
	s_load_b64 s[2:3], s[2:3], 0x0
	s_wait_kmcnt 0x0
	s_and_b64 s[4:5], s[2:3], 0xff
	s_lshr_b64 s[6:7], s[2:3], 8
	s_cmp_lg_u64 s[4:5], 0
	s_cselect_b32 s4, -1, 0
	s_delay_alu instid0(SALU_CYCLE_1)
	s_cmp_lg_u32 s4, 0
	s_add_co_ci_u32 s20, s6, 0
	s_bfe_u32 s4, ttmp6, 0x4000c
	s_and_b32 s5, ttmp6, 15
	s_add_co_i32 s4, s4, 1
	s_getreg_b32 s6, hwreg(HW_REG_IB_STS2, 6, 4)
	s_mul_i32 s4, ttmp9, s4
	s_delay_alu instid0(SALU_CYCLE_1) | instskip(SKIP_2) | instid1(SALU_CYCLE_1)
	s_add_co_i32 s5, s5, s4
	s_cmp_eq_u32 s6, 0
	s_cselect_b32 s21, ttmp9, s5
	s_cmp_ge_i32 s21, s20
	s_cbranch_scc1 .LBB2_37
; %bb.1:
	s_load_b256 s[4:11], s[0:1], 0x0
	v_mov_b32_e32 v2, 0
	s_wait_kmcnt 0x0
	s_clause 0x1
	global_load_u8 v1, v2, s[4:5]
	global_load_u8 v22, v2, s[6:7]
	s_load_b32 s1, s[0:1], 0x28
	s_bfe_i64 s[6:7], s[2:3], 0x200000
	v_lshlrev_b32_e32 v5, 5, v0
	s_delay_alu instid0(VALU_DEP_1) | instskip(NEXT) | instid1(VALU_DEP_1)
	v_lshl_add_u32 v23, s21, 13, v5
	v_sub_nc_u32_e32 v24, 0, v23
	s_wait_kmcnt 0x0
	s_lshl_b32 s22, s1, 13
	s_wait_loadcnt 0x1
	v_readfirstlane_b32 s12, v1
	v_and_b32_e32 v25, 0xff, v1
	s_and_b64 s[4:5], s[12:13], 0xff
	s_delay_alu instid0(SALU_CYCLE_1) | instskip(SKIP_2) | instid1(VALU_DEP_1)
	v_cvt_f32_ubyte0_e32 v3, s4
	s_sub_nc_u64 s[14:15], 0, s[4:5]
	s_sub_co_i32 s23, 0, s4
	v_fmac_f32_e64 v3, 0x4f800000, 0
	s_delay_alu instid0(VALU_DEP_1) | instskip(SKIP_1) | instid1(TRANS32_DEP_1)
	v_rcp_f32_e32 v3, v3
	v_nop
	v_mul_f32_e32 v3, 0x5f7ffffc, v3
	s_delay_alu instid0(VALU_DEP_1) | instskip(NEXT) | instid1(VALU_DEP_1)
	v_mul_f32_e32 v4, 0x2f800000, v3
	v_trunc_f32_e32 v6, v4
	s_delay_alu instid0(VALU_DEP_1) | instskip(SKIP_1) | instid1(VALU_DEP_2)
	v_fmac_f32_e32 v3, 0xcf800000, v6
	v_cvt_u32_f32_e32 v5, v6
	v_cvt_u32_f32_e32 v4, v3
	s_branch .LBB2_3
.LBB2_2:                                ;   in Loop: Header=BB2_3 Depth=1
	s_wait_xcnt 0x0
	s_or_b32 exec_lo, exec_lo, s0
	v_subrev_nc_u32_e32 v24, s22, v24
	v_add_nc_u32_e32 v23, s22, v23
	s_add_co_i32 s21, s1, s21
	s_delay_alu instid0(SALU_CYCLE_1)
	s_cmp_ge_i32 s21, s20
	s_cbranch_scc1 .LBB2_37
.LBB2_3:                                ; =>This Loop Header: Depth=1
                                        ;     Child Loop BB2_19 Depth 2
                                        ;       Child Loop BB2_24 Depth 3
                                        ;       Child Loop BB2_28 Depth 3
	s_lshl_b32 s16, s21, 8
                                        ; implicit-def: $vgpr10_vgpr11
	s_mov_b32 s0, exec_lo
	v_add_nc_u32_e32 v6, s16, v0
	s_delay_alu instid0(VALU_DEP_1) | instskip(NEXT) | instid1(VALU_DEP_1)
	v_ashrrev_i32_e32 v7, 31, v6
	v_lshlrev_b64_e32 v[8:9], 5, v[6:7]
	s_delay_alu instid0(VALU_DEP_1) | instskip(NEXT) | instid1(VALU_DEP_1)
	v_mov_b32_e32 v3, v9
	v_cmpx_ne_u64_e32 0, v[2:3]
	s_xor_b32 s12, exec_lo, s0
	s_cbranch_execz .LBB2_5
; %bb.4:                                ;   in Loop: Header=BB2_3 Depth=1
	v_mul_u64_e32 v[10:11], s[14:15], v[4:5]
	v_dual_mov_b32 v15, v2 :: v_dual_mov_b32 v17, v2
	s_delay_alu instid0(VALU_DEP_2) | instskip(SKIP_1) | instid1(VALU_DEP_4)
	v_mul_hi_u32 v13, v4, v11
	v_mul_lo_u32 v12, v4, v11
	v_mul_hi_u32 v14, v4, v10
	v_mul_lo_u32 v1, v5, v10
	v_mul_hi_u32 v3, v5, v10
	v_mul_hi_u32 v16, v5, v11
	v_mul_lo_u32 v10, v5, v11
	v_add_nc_u64_e32 v[12:13], v[14:15], v[12:13]
	s_delay_alu instid0(VALU_DEP_1) | instskip(NEXT) | instid1(VALU_DEP_2)
	v_add_co_u32 v1, vcc_lo, v12, v1
	v_add_co_ci_u32_e32 v14, vcc_lo, v13, v3, vcc_lo
	v_add_co_ci_u32_e32 v11, vcc_lo, 0, v16, vcc_lo
	s_delay_alu instid0(VALU_DEP_1) | instskip(NEXT) | instid1(VALU_DEP_1)
	v_add_nc_u64_e32 v[10:11], v[14:15], v[10:11]
	v_add_co_u32 v10, vcc_lo, v4, v10
	s_delay_alu instid0(VALU_DEP_1) | instskip(NEXT) | instid1(VALU_DEP_1)
	v_add_co_ci_u32_e64 v11, null, v5, v11, vcc_lo
	v_mul_u64_e32 v[12:13], s[14:15], v[10:11]
	s_delay_alu instid0(VALU_DEP_1) | instskip(SKIP_1) | instid1(VALU_DEP_3)
	v_mul_hi_u32 v15, v10, v13
	v_mul_lo_u32 v14, v10, v13
	v_mul_hi_u32 v16, v10, v12
	v_mul_lo_u32 v1, v11, v12
	v_mul_hi_u32 v3, v11, v12
	v_mul_hi_u32 v18, v11, v13
	v_mul_lo_u32 v12, v11, v13
	v_add_nc_u64_e32 v[14:15], v[16:17], v[14:15]
	s_delay_alu instid0(VALU_DEP_1) | instskip(NEXT) | instid1(VALU_DEP_2)
	v_add_co_u32 v1, vcc_lo, v14, v1
	v_add_co_ci_u32_e32 v16, vcc_lo, v15, v3, vcc_lo
	v_add_co_ci_u32_e32 v13, vcc_lo, 0, v18, vcc_lo
	v_mov_b32_e32 v15, v2
	s_delay_alu instid0(VALU_DEP_2) | instskip(SKIP_1) | instid1(VALU_DEP_2)
	v_add_nc_u64_e32 v[12:13], v[16:17], v[12:13]
	v_mov_b32_e32 v16, v8
	v_add_co_u32 v10, vcc_lo, v10, v12
	s_delay_alu instid0(VALU_DEP_1) | instskip(SKIP_2) | instid1(VALU_DEP_3)
	v_add_co_ci_u32_e64 v14, null, v11, v13, vcc_lo
	v_dual_mov_b32 v12, v9 :: v_dual_mov_b32 v13, v2
	v_mov_b32_e32 v11, v2
	v_mul_u64_e32 v[16:17], v[16:17], v[14:15]
	s_delay_alu instid0(VALU_DEP_2) | instskip(SKIP_2) | instid1(VALU_DEP_1)
	v_mul_u64_e32 v[18:19], v[12:13], v[10:11]
	v_mul_u64_e32 v[12:13], v[12:13], v[14:15]
	v_mul_hi_u32 v10, v8, v10
	v_add_nc_u64_e32 v[10:11], v[10:11], v[16:17]
	s_delay_alu instid0(VALU_DEP_1) | instskip(NEXT) | instid1(VALU_DEP_2)
	v_add_co_u32 v1, vcc_lo, v10, v18
	v_add_co_ci_u32_e32 v14, vcc_lo, v11, v19, vcc_lo
	v_add_co_ci_u32_e32 v13, vcc_lo, 0, v13, vcc_lo
	s_delay_alu instid0(VALU_DEP_1) | instskip(NEXT) | instid1(VALU_DEP_1)
	v_add_nc_u64_e32 v[10:11], v[14:15], v[12:13]
	v_mul_u64_e32 v[12:13], s[4:5], v[10:11]
	s_delay_alu instid0(VALU_DEP_1) | instskip(NEXT) | instid1(VALU_DEP_1)
	v_sub_co_u32 v1, vcc_lo, v8, v12
	v_sub_co_ci_u32_e64 v3, null, v9, v13, vcc_lo
	s_delay_alu instid0(VALU_DEP_2) | instskip(NEXT) | instid1(VALU_DEP_1)
	v_sub_co_u32 v12, vcc_lo, v1, s4
	v_subrev_co_ci_u32_e64 v14, null, 0, v3, vcc_lo
	v_cmp_eq_u32_e64 s0, 0, v3
	s_delay_alu instid0(VALU_DEP_3) | instskip(SKIP_3) | instid1(VALU_DEP_2)
	v_cmp_le_u32_e32 vcc_lo, s4, v12
	v_add_nc_u64_e32 v[12:13], 2, v[10:11]
	v_cndmask_b32_e64 v15, 0, -1, vcc_lo
	v_cmp_eq_u32_e32 vcc_lo, 0, v14
	v_cndmask_b32_e32 v16, -1, v15, vcc_lo
	v_cmp_le_u32_e32 vcc_lo, s4, v1
	v_add_nc_u64_e32 v[14:15], 1, v[10:11]
	v_cndmask_b32_e64 v1, 0, -1, vcc_lo
	s_delay_alu instid0(VALU_DEP_4) | instskip(NEXT) | instid1(VALU_DEP_2)
	v_cmp_ne_u32_e32 vcc_lo, 0, v16
	v_dual_cndmask_b32 v1, -1, v1, s0 :: v_dual_cndmask_b32 v12, v14, v12, vcc_lo
	s_delay_alu instid0(VALU_DEP_4) | instskip(NEXT) | instid1(VALU_DEP_2)
	v_cndmask_b32_e32 v3, v15, v13, vcc_lo
	v_cmp_ne_u32_e32 vcc_lo, 0, v1
	s_delay_alu instid0(VALU_DEP_2)
	v_dual_cndmask_b32 v10, v10, v12 :: v_dual_cndmask_b32 v11, v11, v3
.LBB2_5:                                ;   in Loop: Header=BB2_3 Depth=1
	s_or_saveexec_b32 s0, s12
	v_cvt_f32_u32_e32 v1, s4
	s_xor_b32 exec_lo, exec_lo, s0
	s_cbranch_execz .LBB2_7
; %bb.6:                                ;   in Loop: Header=BB2_3 Depth=1
	s_delay_alu instid0(VALU_DEP_1) | instskip(SKIP_1) | instid1(TRANS32_DEP_1)
	v_rcp_iflag_f32_e32 v3, v1
	v_nop
	v_mul_f32_e32 v3, 0x4f7ffffe, v3
	s_delay_alu instid0(VALU_DEP_1) | instskip(NEXT) | instid1(VALU_DEP_1)
	v_cvt_u32_f32_e32 v3, v3
	v_mul_lo_u32 v10, s23, v3
	s_delay_alu instid0(VALU_DEP_1) | instskip(NEXT) | instid1(VALU_DEP_1)
	v_mul_hi_u32 v10, v3, v10
	v_add_nc_u32_e32 v3, v3, v10
	s_delay_alu instid0(VALU_DEP_1) | instskip(NEXT) | instid1(VALU_DEP_1)
	v_mul_hi_u32 v3, v8, v3
	v_mul_lo_u32 v10, v3, s4
	s_delay_alu instid0(VALU_DEP_1) | instskip(NEXT) | instid1(VALU_DEP_1)
	v_dual_add_nc_u32 v11, 1, v3 :: v_dual_sub_nc_u32 v10, v8, v10
	v_subrev_nc_u32_e32 v12, s4, v10
	v_cmp_le_u32_e32 vcc_lo, s4, v10
	s_delay_alu instid0(VALU_DEP_2) | instskip(NEXT) | instid1(VALU_DEP_1)
	v_dual_cndmask_b32 v10, v10, v12 :: v_dual_cndmask_b32 v3, v3, v11
	v_cmp_le_u32_e32 vcc_lo, s4, v10
	s_delay_alu instid0(VALU_DEP_2) | instskip(NEXT) | instid1(VALU_DEP_1)
	v_add_nc_u32_e32 v11, 1, v3
	v_dual_cndmask_b32 v10, v3, v11 :: v_dual_mov_b32 v11, v2
.LBB2_7:                                ;   in Loop: Header=BB2_3 Depth=1
	s_or_b32 exec_lo, exec_lo, s0
	v_add_nc_u64_e32 v[12:13], 32, v[8:9]
                                        ; implicit-def: $vgpr14_vgpr15
	s_mov_b32 s0, exec_lo
	s_delay_alu instid0(VALU_DEP_1) | instskip(NEXT) | instid1(VALU_DEP_1)
	v_mov_b32_e32 v3, v13
	v_cmpx_ne_u64_e32 0, v[2:3]
	s_xor_b32 s12, exec_lo, s0
	s_cbranch_execz .LBB2_9
; %bb.8:                                ;   in Loop: Header=BB2_3 Depth=1
	v_mul_u64_e32 v[14:15], s[14:15], v[4:5]
	v_dual_mov_b32 v19, v2 :: v_dual_mov_b32 v21, v2
	s_delay_alu instid0(VALU_DEP_2) | instskip(SKIP_1) | instid1(VALU_DEP_4)
	v_mul_hi_u32 v17, v4, v15
	v_mul_lo_u32 v16, v4, v15
	v_mul_hi_u32 v18, v4, v14
	v_mul_lo_u32 v3, v5, v14
	v_mul_hi_u32 v9, v5, v14
	v_mul_hi_u32 v20, v5, v15
	v_mul_lo_u32 v14, v5, v15
	v_add_nc_u64_e32 v[16:17], v[18:19], v[16:17]
	s_delay_alu instid0(VALU_DEP_1) | instskip(NEXT) | instid1(VALU_DEP_2)
	v_add_co_u32 v3, vcc_lo, v16, v3
	v_add_co_ci_u32_e32 v18, vcc_lo, v17, v9, vcc_lo
	v_add_co_ci_u32_e32 v15, vcc_lo, 0, v20, vcc_lo
	s_delay_alu instid0(VALU_DEP_1) | instskip(NEXT) | instid1(VALU_DEP_1)
	v_add_nc_u64_e32 v[14:15], v[18:19], v[14:15]
	v_add_co_u32 v14, vcc_lo, v4, v14
	s_delay_alu instid0(VALU_DEP_1) | instskip(NEXT) | instid1(VALU_DEP_1)
	v_add_co_ci_u32_e64 v15, null, v5, v15, vcc_lo
	v_mul_u64_e32 v[16:17], s[14:15], v[14:15]
	s_delay_alu instid0(VALU_DEP_1) | instskip(SKIP_1) | instid1(VALU_DEP_3)
	v_mul_hi_u32 v19, v14, v17
	v_mul_lo_u32 v18, v14, v17
	v_mul_hi_u32 v20, v14, v16
	v_mul_lo_u32 v3, v15, v16
	v_mul_hi_u32 v9, v15, v16
	v_mul_hi_u32 v26, v15, v17
	v_mul_lo_u32 v16, v15, v17
	v_add_nc_u64_e32 v[18:19], v[20:21], v[18:19]
	s_delay_alu instid0(VALU_DEP_1) | instskip(NEXT) | instid1(VALU_DEP_2)
	v_add_co_u32 v3, vcc_lo, v18, v3
	v_add_co_ci_u32_e32 v20, vcc_lo, v19, v9, vcc_lo
	v_add_co_ci_u32_e32 v17, vcc_lo, 0, v26, vcc_lo
	v_mov_b32_e32 v19, v2
	s_delay_alu instid0(VALU_DEP_2) | instskip(SKIP_1) | instid1(VALU_DEP_2)
	v_add_nc_u64_e32 v[16:17], v[20:21], v[16:17]
	v_mov_b32_e32 v20, v12
	v_add_co_u32 v14, vcc_lo, v14, v16
	s_delay_alu instid0(VALU_DEP_1) | instskip(SKIP_2) | instid1(VALU_DEP_3)
	v_add_co_ci_u32_e64 v18, null, v15, v17, vcc_lo
	v_dual_mov_b32 v16, v13 :: v_dual_mov_b32 v17, v2
	v_mov_b32_e32 v15, v2
	v_mul_u64_e32 v[20:21], v[20:21], v[18:19]
	s_delay_alu instid0(VALU_DEP_2) | instskip(SKIP_2) | instid1(VALU_DEP_1)
	v_mul_u64_e32 v[26:27], v[16:17], v[14:15]
	v_mul_u64_e32 v[16:17], v[16:17], v[18:19]
	v_mul_hi_u32 v14, v12, v14
	v_add_nc_u64_e32 v[14:15], v[14:15], v[20:21]
	s_delay_alu instid0(VALU_DEP_1) | instskip(NEXT) | instid1(VALU_DEP_2)
	v_add_co_u32 v3, vcc_lo, v14, v26
	v_add_co_ci_u32_e32 v18, vcc_lo, v15, v27, vcc_lo
	v_add_co_ci_u32_e32 v17, vcc_lo, 0, v17, vcc_lo
	s_delay_alu instid0(VALU_DEP_1) | instskip(NEXT) | instid1(VALU_DEP_1)
	v_add_nc_u64_e32 v[14:15], v[18:19], v[16:17]
	v_mul_u64_e32 v[16:17], s[4:5], v[14:15]
	s_delay_alu instid0(VALU_DEP_1) | instskip(NEXT) | instid1(VALU_DEP_1)
	v_sub_co_u32 v3, vcc_lo, v12, v16
	v_sub_co_ci_u32_e64 v9, null, v13, v17, vcc_lo
	s_delay_alu instid0(VALU_DEP_2) | instskip(NEXT) | instid1(VALU_DEP_1)
	v_sub_co_u32 v16, vcc_lo, v3, s4
	v_subrev_co_ci_u32_e64 v18, null, 0, v9, vcc_lo
	v_cmp_eq_u32_e64 s0, 0, v9
	s_delay_alu instid0(VALU_DEP_3) | instskip(SKIP_3) | instid1(VALU_DEP_2)
	v_cmp_le_u32_e32 vcc_lo, s4, v16
	v_add_nc_u64_e32 v[16:17], 2, v[14:15]
	v_cndmask_b32_e64 v19, 0, -1, vcc_lo
	v_cmp_eq_u32_e32 vcc_lo, 0, v18
	v_cndmask_b32_e32 v20, -1, v19, vcc_lo
	v_cmp_le_u32_e32 vcc_lo, s4, v3
	v_add_nc_u64_e32 v[18:19], 1, v[14:15]
	v_cndmask_b32_e64 v3, 0, -1, vcc_lo
	s_delay_alu instid0(VALU_DEP_4) | instskip(NEXT) | instid1(VALU_DEP_2)
	v_cmp_ne_u32_e32 vcc_lo, 0, v20
	v_dual_cndmask_b32 v3, -1, v3, s0 :: v_dual_cndmask_b32 v9, v19, v17, vcc_lo
	s_delay_alu instid0(VALU_DEP_4) | instskip(NEXT) | instid1(VALU_DEP_2)
	v_cndmask_b32_e32 v16, v18, v16, vcc_lo
	v_cmp_ne_u32_e32 vcc_lo, 0, v3
	s_delay_alu instid0(VALU_DEP_2)
	v_dual_cndmask_b32 v15, v15, v9 :: v_dual_cndmask_b32 v14, v14, v16
.LBB2_9:                                ;   in Loop: Header=BB2_3 Depth=1
	s_and_not1_saveexec_b32 s0, s12
	s_cbranch_execz .LBB2_11
; %bb.10:                               ;   in Loop: Header=BB2_3 Depth=1
	v_rcp_iflag_f32_e32 v3, v1
	v_nop
	s_delay_alu instid0(TRANS32_DEP_1) | instskip(NEXT) | instid1(VALU_DEP_1)
	v_mul_f32_e32 v3, 0x4f7ffffe, v3
	v_cvt_u32_f32_e32 v3, v3
	s_delay_alu instid0(VALU_DEP_1) | instskip(NEXT) | instid1(VALU_DEP_1)
	v_mul_lo_u32 v9, s23, v3
	v_mul_hi_u32 v9, v3, v9
	s_delay_alu instid0(VALU_DEP_1) | instskip(NEXT) | instid1(VALU_DEP_1)
	v_add_nc_u32_e32 v3, v3, v9
	v_mul_hi_u32 v3, v12, v3
	s_delay_alu instid0(VALU_DEP_1) | instskip(NEXT) | instid1(VALU_DEP_1)
	v_mul_lo_u32 v9, v3, s4
	v_dual_add_nc_u32 v14, 1, v3 :: v_dual_sub_nc_u32 v9, v12, v9
	s_delay_alu instid0(VALU_DEP_1) | instskip(SKIP_1) | instid1(VALU_DEP_2)
	v_subrev_nc_u32_e32 v15, s4, v9
	v_cmp_le_u32_e32 vcc_lo, s4, v9
	v_dual_cndmask_b32 v9, v9, v15, vcc_lo :: v_dual_mov_b32 v15, v2
	s_delay_alu instid0(VALU_DEP_4) | instskip(NEXT) | instid1(VALU_DEP_2)
	v_cndmask_b32_e32 v3, v3, v14, vcc_lo
	v_cmp_le_u32_e32 vcc_lo, s4, v9
	s_delay_alu instid0(VALU_DEP_2) | instskip(NEXT) | instid1(VALU_DEP_1)
	v_add_nc_u32_e32 v14, 1, v3
	v_cndmask_b32_e32 v14, v3, v14, vcc_lo
.LBB2_11:                               ;   in Loop: Header=BB2_3 Depth=1
	s_or_b32 exec_lo, exec_lo, s0
	s_ashr_i32 s17, s16, 31
	s_delay_alu instid0(SALU_CYCLE_1) | instskip(NEXT) | instid1(SALU_CYCLE_1)
	s_lshl_b64 s[18:19], s[16:17], 5
	s_and_b64 s[24:25], s[18:19], 0xffffffff00000000
	s_delay_alu instid0(SALU_CYCLE_1)
	s_cmp_lg_u64 s[24:25], 0
	s_cbranch_scc0 .LBB2_35
; %bb.12:                               ;   in Loop: Header=BB2_3 Depth=1
	v_mul_u64_e32 v[16:17], s[14:15], v[4:5]
	v_dual_mov_b32 v21, v2 :: v_dual_mov_b32 v27, v2
	s_delay_alu instid0(VALU_DEP_2) | instskip(SKIP_1) | instid1(VALU_DEP_4)
	v_mul_hi_u32 v19, v4, v17
	v_mul_lo_u32 v18, v4, v17
	v_mul_hi_u32 v20, v4, v16
	v_mul_lo_u32 v3, v5, v16
	v_mul_hi_u32 v9, v5, v16
	v_mul_hi_u32 v26, v5, v17
	v_mul_lo_u32 v16, v5, v17
	v_add_nc_u64_e32 v[18:19], v[20:21], v[18:19]
	s_delay_alu instid0(VALU_DEP_1) | instskip(NEXT) | instid1(VALU_DEP_2)
	v_add_co_u32 v3, vcc_lo, v18, v3
	v_add_co_ci_u32_e32 v20, vcc_lo, v19, v9, vcc_lo
	v_add_co_ci_u32_e32 v17, vcc_lo, 0, v26, vcc_lo
	s_delay_alu instid0(VALU_DEP_1) | instskip(NEXT) | instid1(VALU_DEP_1)
	v_add_nc_u64_e32 v[16:17], v[20:21], v[16:17]
	v_add_co_u32 v16, vcc_lo, v4, v16
	s_delay_alu instid0(VALU_DEP_1) | instskip(NEXT) | instid1(VALU_DEP_1)
	v_add_co_ci_u32_e64 v17, null, v5, v17, vcc_lo
	v_mul_u64_e32 v[18:19], s[14:15], v[16:17]
	s_delay_alu instid0(VALU_DEP_1) | instskip(SKIP_1) | instid1(VALU_DEP_3)
	v_mul_hi_u32 v21, v16, v19
	v_mul_lo_u32 v20, v16, v19
	v_mul_hi_u32 v26, v16, v18
	v_mul_lo_u32 v3, v17, v18
	v_mul_hi_u32 v9, v17, v18
	v_mul_hi_u32 v28, v17, v19
	v_mul_lo_u32 v18, v17, v19
	v_add_nc_u64_e32 v[20:21], v[26:27], v[20:21]
	s_delay_alu instid0(VALU_DEP_1) | instskip(NEXT) | instid1(VALU_DEP_2)
	v_add_co_u32 v3, vcc_lo, v20, v3
	v_add_co_ci_u32_e32 v26, vcc_lo, v21, v9, vcc_lo
	v_add_co_ci_u32_e32 v19, vcc_lo, 0, v28, vcc_lo
	s_delay_alu instid0(VALU_DEP_1) | instskip(NEXT) | instid1(VALU_DEP_1)
	v_add_nc_u64_e32 v[18:19], v[26:27], v[18:19]
	v_add_co_u32 v3, vcc_lo, v16, v18
	s_delay_alu instid0(VALU_DEP_1) | instskip(SKIP_1) | instid1(VALU_DEP_3)
	v_add_co_ci_u32_e64 v9, null, v17, v19, vcc_lo
	v_mov_b32_e32 v19, v2
	v_mul_hi_u32 v18, s18, v3
	v_mul_lo_u32 v21, s19, v3
	s_delay_alu instid0(VALU_DEP_4) | instskip(SKIP_4) | instid1(VALU_DEP_4)
	v_mul_hi_u32 v17, s18, v9
	v_mul_lo_u32 v16, s18, v9
	v_mul_hi_u32 v3, s19, v3
	v_mul_hi_u32 v26, s19, v9
	v_mul_lo_u32 v20, s19, v9
	v_add_nc_u64_e32 v[16:17], v[18:19], v[16:17]
	s_delay_alu instid0(VALU_DEP_1) | instskip(NEXT) | instid1(VALU_DEP_2)
	v_add_co_u32 v9, vcc_lo, v16, v21
	v_add_co_ci_u32_e32 v18, vcc_lo, v17, v3, vcc_lo
	v_add_co_ci_u32_e32 v21, vcc_lo, 0, v26, vcc_lo
	s_delay_alu instid0(VALU_DEP_1) | instskip(NEXT) | instid1(VALU_DEP_1)
	v_add_nc_u64_e32 v[16:17], v[18:19], v[20:21]
	v_mul_u64_e32 v[18:19], s[4:5], v[16:17]
	s_delay_alu instid0(VALU_DEP_1) | instskip(NEXT) | instid1(VALU_DEP_1)
	v_sub_co_u32 v3, vcc_lo, s18, v18
	v_sub_co_ci_u32_e64 v9, null, s19, v19, vcc_lo
	s_delay_alu instid0(VALU_DEP_2) | instskip(NEXT) | instid1(VALU_DEP_1)
	v_sub_co_u32 v18, vcc_lo, v3, s4
	v_subrev_co_ci_u32_e64 v20, null, 0, v9, vcc_lo
	v_cmp_eq_u32_e64 s0, 0, v9
	s_delay_alu instid0(VALU_DEP_3) | instskip(SKIP_3) | instid1(VALU_DEP_2)
	v_cmp_le_u32_e32 vcc_lo, s4, v18
	v_add_nc_u64_e32 v[18:19], 1, v[16:17]
	v_cndmask_b32_e64 v21, 0, -1, vcc_lo
	v_cmp_eq_u32_e32 vcc_lo, 0, v20
	v_cndmask_b32_e32 v26, -1, v21, vcc_lo
	v_cmp_le_u32_e32 vcc_lo, s4, v3
	v_add_nc_u64_e32 v[20:21], 2, v[16:17]
	v_cndmask_b32_e64 v3, 0, -1, vcc_lo
	s_delay_alu instid0(VALU_DEP_4) | instskip(NEXT) | instid1(VALU_DEP_2)
	v_cmp_ne_u32_e32 vcc_lo, 0, v26
	v_dual_cndmask_b32 v3, -1, v3, s0 :: v_dual_cndmask_b32 v9, v18, v20, vcc_lo
	s_delay_alu instid0(VALU_DEP_4) | instskip(NEXT) | instid1(VALU_DEP_2)
	v_cndmask_b32_e32 v18, v19, v21, vcc_lo
	v_cmp_ne_u32_e32 vcc_lo, 0, v3
	s_delay_alu instid0(VALU_DEP_2)
	v_dual_cndmask_b32 v17, v17, v18 :: v_dual_cndmask_b32 v16, v16, v9
	s_cbranch_execnz .LBB2_14
.LBB2_13:                               ;   in Loop: Header=BB2_3 Depth=1
	v_rcp_iflag_f32_e32 v3, v1
	v_nop
	s_delay_alu instid0(TRANS32_DEP_1) | instskip(NEXT) | instid1(VALU_DEP_1)
	v_mul_f32_e32 v3, 0x4f7ffffe, v3
	v_cvt_u32_f32_e32 v3, v3
	s_delay_alu instid0(VALU_DEP_1) | instskip(SKIP_1) | instid1(SALU_CYCLE_1)
	v_readfirstlane_b32 s0, v3
	s_mul_i32 s12, s23, s0
	s_mul_hi_u32 s12, s0, s12
	s_delay_alu instid0(SALU_CYCLE_1) | instskip(NEXT) | instid1(SALU_CYCLE_1)
	s_add_co_i32 s0, s0, s12
	s_mul_hi_u32 s0, s18, s0
	s_delay_alu instid0(SALU_CYCLE_1) | instskip(SKIP_2) | instid1(SALU_CYCLE_1)
	s_mul_i32 s12, s0, s4
	s_add_co_i32 s17, s0, 1
	s_sub_co_i32 s12, s18, s12
	s_sub_co_i32 s18, s12, s4
	s_cmp_ge_u32 s12, s4
	s_cselect_b32 s0, s17, s0
	s_cselect_b32 s12, s18, s12
	s_add_co_i32 s17, s0, 1
	s_cmp_ge_u32 s12, s4
	s_cselect_b32 s12, s17, s0
	s_delay_alu instid0(SALU_CYCLE_1)
	v_mov_b64_e32 v[16:17], s[12:13]
.LBB2_14:                               ;   in Loop: Header=BB2_3 Depth=1
	s_addk_co_i32 s16, 0x100
	s_delay_alu instid0(SALU_CYCLE_1) | instskip(NEXT) | instid1(SALU_CYCLE_1)
	s_ashr_i32 s17, s16, 31
	s_lshl_b64 s[16:17], s[16:17], 5
	s_delay_alu instid0(SALU_CYCLE_1) | instskip(NEXT) | instid1(SALU_CYCLE_1)
	s_and_b64 s[18:19], s[16:17], 0xffffffff00000000
	s_cmp_lg_u64 s[18:19], 0
	s_cbranch_scc0 .LBB2_36
; %bb.15:                               ;   in Loop: Header=BB2_3 Depth=1
	v_mul_u64_e32 v[18:19], s[14:15], v[4:5]
	v_dual_mov_b32 v27, v2 :: v_dual_mov_b32 v29, v2
	s_delay_alu instid0(VALU_DEP_2) | instskip(SKIP_1) | instid1(VALU_DEP_4)
	v_mul_hi_u32 v21, v4, v19
	v_mul_lo_u32 v20, v4, v19
	v_mul_hi_u32 v26, v4, v18
	v_mul_lo_u32 v3, v5, v18
	v_mul_hi_u32 v9, v5, v18
	v_mul_hi_u32 v28, v5, v19
	v_mul_lo_u32 v18, v5, v19
	v_add_nc_u64_e32 v[20:21], v[26:27], v[20:21]
	s_delay_alu instid0(VALU_DEP_1) | instskip(NEXT) | instid1(VALU_DEP_2)
	v_add_co_u32 v3, vcc_lo, v20, v3
	v_add_co_ci_u32_e32 v26, vcc_lo, v21, v9, vcc_lo
	v_add_co_ci_u32_e32 v19, vcc_lo, 0, v28, vcc_lo
	s_delay_alu instid0(VALU_DEP_1) | instskip(NEXT) | instid1(VALU_DEP_1)
	v_add_nc_u64_e32 v[18:19], v[26:27], v[18:19]
	v_add_co_u32 v18, vcc_lo, v4, v18
	s_delay_alu instid0(VALU_DEP_1) | instskip(NEXT) | instid1(VALU_DEP_1)
	v_add_co_ci_u32_e64 v19, null, v5, v19, vcc_lo
	v_mul_u64_e32 v[20:21], s[14:15], v[18:19]
	s_delay_alu instid0(VALU_DEP_1) | instskip(SKIP_1) | instid1(VALU_DEP_3)
	v_mul_hi_u32 v27, v18, v21
	v_mul_lo_u32 v26, v18, v21
	v_mul_hi_u32 v28, v18, v20
	v_mul_lo_u32 v3, v19, v20
	v_mul_hi_u32 v9, v19, v20
	v_mul_hi_u32 v30, v19, v21
	v_mul_lo_u32 v20, v19, v21
	v_add_nc_u64_e32 v[26:27], v[28:29], v[26:27]
	s_delay_alu instid0(VALU_DEP_1) | instskip(NEXT) | instid1(VALU_DEP_2)
	v_add_co_u32 v3, vcc_lo, v26, v3
	v_add_co_ci_u32_e32 v28, vcc_lo, v27, v9, vcc_lo
	v_add_co_ci_u32_e32 v21, vcc_lo, 0, v30, vcc_lo
	s_delay_alu instid0(VALU_DEP_1) | instskip(NEXT) | instid1(VALU_DEP_1)
	v_add_nc_u64_e32 v[20:21], v[28:29], v[20:21]
	v_add_co_u32 v3, vcc_lo, v18, v20
	s_delay_alu instid0(VALU_DEP_1) | instskip(SKIP_1) | instid1(VALU_DEP_3)
	v_add_co_ci_u32_e64 v9, null, v19, v21, vcc_lo
	v_mov_b32_e32 v21, v2
	v_mul_hi_u32 v20, s16, v3
	v_mul_lo_u32 v27, s17, v3
	s_delay_alu instid0(VALU_DEP_4) | instskip(SKIP_4) | instid1(VALU_DEP_4)
	v_mul_hi_u32 v19, s16, v9
	v_mul_lo_u32 v18, s16, v9
	v_mul_hi_u32 v3, s17, v3
	v_mul_hi_u32 v28, s17, v9
	v_mul_lo_u32 v26, s17, v9
	v_add_nc_u64_e32 v[18:19], v[20:21], v[18:19]
	s_delay_alu instid0(VALU_DEP_1) | instskip(NEXT) | instid1(VALU_DEP_2)
	v_add_co_u32 v9, vcc_lo, v18, v27
	v_add_co_ci_u32_e32 v20, vcc_lo, v19, v3, vcc_lo
	v_add_co_ci_u32_e32 v27, vcc_lo, 0, v28, vcc_lo
	s_delay_alu instid0(VALU_DEP_1) | instskip(NEXT) | instid1(VALU_DEP_1)
	v_add_nc_u64_e32 v[18:19], v[20:21], v[26:27]
	v_mul_u64_e32 v[20:21], s[4:5], v[18:19]
	s_delay_alu instid0(VALU_DEP_1) | instskip(NEXT) | instid1(VALU_DEP_1)
	v_sub_co_u32 v3, vcc_lo, s16, v20
	v_sub_co_ci_u32_e64 v9, null, s17, v21, vcc_lo
	s_delay_alu instid0(VALU_DEP_2) | instskip(NEXT) | instid1(VALU_DEP_1)
	v_sub_co_u32 v20, vcc_lo, v3, s4
	v_subrev_co_ci_u32_e64 v26, null, 0, v9, vcc_lo
	v_cmp_eq_u32_e64 s0, 0, v9
	s_delay_alu instid0(VALU_DEP_3) | instskip(SKIP_3) | instid1(VALU_DEP_2)
	v_cmp_le_u32_e32 vcc_lo, s4, v20
	v_add_nc_u64_e32 v[20:21], 1, v[18:19]
	v_cndmask_b32_e64 v27, 0, -1, vcc_lo
	v_cmp_eq_u32_e32 vcc_lo, 0, v26
	v_cndmask_b32_e32 v28, -1, v27, vcc_lo
	v_cmp_le_u32_e32 vcc_lo, s4, v3
	v_add_nc_u64_e32 v[26:27], 2, v[18:19]
	v_cndmask_b32_e64 v3, 0, -1, vcc_lo
	s_delay_alu instid0(VALU_DEP_4) | instskip(NEXT) | instid1(VALU_DEP_2)
	v_cmp_ne_u32_e32 vcc_lo, 0, v28
	v_dual_cndmask_b32 v3, -1, v3, s0 :: v_dual_cndmask_b32 v9, v20, v26, vcc_lo
	s_delay_alu instid0(VALU_DEP_4) | instskip(NEXT) | instid1(VALU_DEP_2)
	v_cndmask_b32_e32 v20, v21, v27, vcc_lo
	v_cmp_ne_u32_e32 vcc_lo, 0, v3
	s_delay_alu instid0(VALU_DEP_2)
	v_dual_cndmask_b32 v18, v18, v9 :: v_dual_cndmask_b32 v19, v19, v20
	s_cbranch_execnz .LBB2_17
.LBB2_16:                               ;   in Loop: Header=BB2_3 Depth=1
	v_rcp_iflag_f32_e32 v1, v1
	v_nop
	s_delay_alu instid0(TRANS32_DEP_1) | instskip(NEXT) | instid1(VALU_DEP_1)
	v_mul_f32_e32 v1, 0x4f7ffffe, v1
	v_cvt_u32_f32_e32 v1, v1
	s_delay_alu instid0(VALU_DEP_1) | instskip(SKIP_1) | instid1(SALU_CYCLE_1)
	v_readfirstlane_b32 s0, v1
	s_mul_i32 s12, s23, s0
	s_mul_hi_u32 s12, s0, s12
	s_delay_alu instid0(SALU_CYCLE_1) | instskip(NEXT) | instid1(SALU_CYCLE_1)
	s_add_co_i32 s0, s0, s12
	s_mul_hi_u32 s0, s16, s0
	s_delay_alu instid0(SALU_CYCLE_1) | instskip(SKIP_2) | instid1(SALU_CYCLE_1)
	s_mul_i32 s12, s0, s4
	s_add_co_i32 s18, s0, 1
	s_sub_co_i32 s12, s16, s12
	s_sub_co_i32 s19, s12, s4
	s_cmp_ge_u32 s12, s4
	s_cselect_b32 s0, s18, s0
	s_cselect_b32 s12, s19, s12
	s_add_co_i32 s18, s0, 1
	s_cmp_ge_u32 s12, s4
	s_cselect_b32 s12, s18, s0
	s_delay_alu instid0(SALU_CYCLE_1)
	v_mov_b64_e32 v[18:19], s[12:13]
.LBB2_17:                               ;   in Loop: Header=BB2_3 Depth=1
	s_delay_alu instid0(VALU_DEP_1)
	v_mul_u64_e32 v[20:21], s[4:5], v[18:19]
	v_mov_b32_e32 v27, s13
	v_and_b32_e32 v16, 0xffffff00, v16
	v_min_u64 v[10:11], s[6:7], v[10:11]
	v_mov_b32_e32 v3, 0
	v_sub_nc_u64_e32 v[20:21], s[16:17], v[20:21]
	s_delay_alu instid0(VALU_DEP_1) | instskip(SKIP_2) | instid1(VALU_DEP_1)
	v_cmp_ne_u64_e32 vcc_lo, 0, v[20:21]
	v_mov_b32_e32 v21, v2
	v_cndmask_b32_e64 v26, 0, 1, vcc_lo
	v_add_nc_u64_e32 v[18:19], v[18:19], v[26:27]
	s_delay_alu instid0(VALU_DEP_1) | instskip(NEXT) | instid1(VALU_DEP_1)
	v_and_b32_e32 v20, 0xff, v18
	v_cmp_eq_u64_e32 vcc_lo, 0, v[20:21]
	v_cndmask_b32_e64 v20, 0x100, 0, vcc_lo
	s_delay_alu instid0(VALU_DEP_1) | instskip(SKIP_1) | instid1(VALU_DEP_2)
	v_add_nc_u64_e32 v[20:21], v[20:21], v[18:19]
	v_min_u64 v[18:19], s[6:7], v[16:17]
	v_and_b32_e32 v20, 0xffffff00, v20
	s_delay_alu instid0(VALU_DEP_1) | instskip(NEXT) | instid1(VALU_DEP_1)
	v_min_u64 v[16:17], s[6:7], v[20:21]
	v_cmp_ge_i32_e32 vcc_lo, v18, v16
	s_cbranch_vccnz .LBB2_33
; %bb.18:                               ;   in Loop: Header=BB2_3 Depth=1
	v_mul_u64_e32 v[20:21], s[4:5], v[14:15]
	v_dual_mov_b32 v3, 0 :: v_dual_mov_b32 v1, v8
	s_delay_alu instid0(VALU_DEP_2) | instskip(NEXT) | instid1(VALU_DEP_1)
	v_sub_nc_u64_e32 v[12:13], v[12:13], v[20:21]
	v_cmp_ne_u64_e32 vcc_lo, 0, v[12:13]
	v_mov_b32_e32 v13, s13
	v_cndmask_b32_e64 v12, 0, 1, vcc_lo
	s_delay_alu instid0(VALU_DEP_1) | instskip(NEXT) | instid1(VALU_DEP_1)
	v_add_nc_u64_e32 v[12:13], v[14:15], v[12:13]
	v_min_u64 v[12:13], s[6:7], v[12:13]
.LBB2_19:                               ;   Parent Loop BB2_3 Depth=1
                                        ; =>  This Loop Header: Depth=2
                                        ;       Child Loop BB2_24 Depth 3
                                        ;       Child Loop BB2_28 Depth 3
	s_delay_alu instid0(VALU_DEP_1)
	v_add_nc_u32_e32 v14, v18, v0
	s_mov_b32 s0, exec_lo
	s_wait_loadcnt 0x0
	s_barrier_signal -1
	s_barrier_wait -1
	v_ashrrev_i32_e32 v15, 31, v14
	s_delay_alu instid0(VALU_DEP_1)
	v_cmpx_gt_u64_e64 s[2:3], v[14:15]
	s_cbranch_execz .LBB2_21
; %bb.20:                               ;   in Loop: Header=BB2_19 Depth=2
	v_add_nc_u64_e32 v[14:15], s[10:11], v[14:15]
	global_load_u8 v9, v[14:15], off
	s_wait_loadcnt 0x0
	v_sub_nc_u16 v9, v9, v22
	ds_store_b8 v0, v9
.LBB2_21:                               ;   in Loop: Header=BB2_19 Depth=2
	s_wait_xcnt 0x0
	s_or_b32 exec_lo, exec_lo, s0
	v_add_nc_u32_e32 v9, 0x100, v18
	v_max_i32_e32 v14, v10, v18
	s_mov_b32 s0, exec_lo
	s_wait_dscnt 0x0
	s_barrier_signal -1
	v_min_i32_e32 v11, v12, v9
	s_barrier_wait -1
	s_delay_alu instid0(VALU_DEP_1)
	v_cmpx_gt_i32_e64 v11, v14
	s_xor_b32 s0, exec_lo, s0
	s_cbranch_execz .LBB2_31
; %bb.22:                               ;   in Loop: Header=BB2_19 Depth=2
	v_sub_nc_u32_e32 v13, v11, v14
	s_mov_b32 s16, -1
	s_mov_b32 s12, exec_lo
	s_delay_alu instid0(VALU_DEP_1)
	v_cmpx_lt_u32_e32 1, v13
	s_cbranch_execz .LBB2_26
; %bb.23:                               ;   in Loop: Header=BB2_19 Depth=2
	v_dual_add_nc_u32 v15, 1, v14 :: v_dual_bitop2_b32 v17, -2, v13 bitop3:0x40
	v_mov_b32_e32 v19, 0
	s_mov_b32 s16, 0
	s_mov_b32 s17, 0
	s_delay_alu instid0(VALU_DEP_2)
	v_mov_b32_e32 v26, v17
	v_mov_b64_e32 v[20:21], v[14:15]
.LBB2_24:                               ;   Parent Loop BB2_3 Depth=1
                                        ;     Parent Loop BB2_19 Depth=2
                                        ; =>    This Inner Loop Header: Depth=3
	s_delay_alu instid0(VALU_DEP_1) | instskip(NEXT) | instid1(VALU_DEP_2)
	v_mul_lo_u32 v27, v21, v25
	v_mul_lo_u32 v28, v20, v25
	v_add_nc_u32_e32 v15, s17, v14
	s_add_co_i32 s17, s17, 2
	v_add_nc_u32_e32 v21, 2, v21
	s_delay_alu instid0(VALU_DEP_4) | instskip(NEXT) | instid1(VALU_DEP_3)
	v_sub_nc_u32_e32 v27, v27, v1
	v_dual_sub_nc_u32 v15, v15, v18 :: v_dual_sub_nc_u32 v28, v28, v8
	s_delay_alu instid0(VALU_DEP_2)
	v_sub_nc_u32_e32 v29, 0, v27
	ds_load_u16 v15, v15
	v_sub_nc_u32_e32 v31, 0, v28
	v_cmp_lt_i32_e32 vcc_lo, 0, v28
	s_wait_dscnt 0x0
	v_lshrrev_b16 v30, 8, v15
	v_and_b32_e32 v15, 0xff, v15
	s_delay_alu instid0(VALU_DEP_2) | instskip(NEXT) | instid1(VALU_DEP_2)
	v_and_b32_e32 v30, 0xffff, v30
	v_dual_lshlrev_b32 v32, v28, v15 :: v_dual_lshrrev_b32 v15, v31, v15
	v_add_nc_u32_e32 v26, -2, v26
	s_delay_alu instid0(VALU_DEP_3) | instskip(NEXT) | instid1(VALU_DEP_3)
	v_dual_lshlrev_b32 v31, v27, v30 :: v_dual_lshrrev_b32 v29, v29, v30
	v_cndmask_b32_e32 v15, v15, v32, vcc_lo
	v_cmp_lt_i32_e32 vcc_lo, 0, v27
	s_delay_alu instid0(VALU_DEP_2) | instskip(NEXT) | instid1(VALU_DEP_4)
	v_dual_add_nc_u32 v20, 2, v20 :: v_dual_bitop2_b32 v3, v15, v3 bitop3:0x54
	v_cndmask_b32_e32 v27, v29, v31, vcc_lo
	v_cmp_eq_u32_e32 vcc_lo, 0, v26
	s_delay_alu instid0(VALU_DEP_2) | instskip(SKIP_1) | instid1(SALU_CYCLE_1)
	v_or_b32_e32 v19, v27, v19
	s_or_b32 s16, vcc_lo, s16
	s_and_not1_b32 exec_lo, exec_lo, s16
	s_cbranch_execnz .LBB2_24
; %bb.25:                               ;   in Loop: Header=BB2_19 Depth=2
	s_or_b32 exec_lo, exec_lo, s16
	v_cmp_ne_u32_e32 vcc_lo, v13, v17
	v_dual_add_nc_u32 v14, v14, v17 :: v_dual_bitop2_b32 v3, v3, v19 bitop3:0x54
	s_or_not1_b32 s16, vcc_lo, exec_lo
.LBB2_26:                               ;   in Loop: Header=BB2_19 Depth=2
	s_or_b32 exec_lo, exec_lo, s12
	s_and_saveexec_b32 s12, s16
	s_cbranch_execz .LBB2_30
; %bb.27:                               ;   in Loop: Header=BB2_19 Depth=2
	v_mul_lo_u32 v15, v25, v14
	s_mov_b32 s16, 0
	s_delay_alu instid0(VALU_DEP_1)
	v_dual_add_nc_u32 v13, v24, v15 :: v_dual_sub_nc_u32 v15, v23, v15
.LBB2_28:                               ;   Parent Loop BB2_3 Depth=1
                                        ;     Parent Loop BB2_19 Depth=2
                                        ; =>    This Inner Loop Header: Depth=3
	v_sub_nc_u32_e32 v17, v14, v18
	s_delay_alu instid0(VALU_DEP_2) | instskip(SKIP_4) | instid1(VALU_DEP_2)
	v_cmp_lt_i32_e32 vcc_lo, 0, v13
	ds_load_u8 v17, v17
	s_wait_dscnt 0x0
	v_dual_lshlrev_b32 v19, v13, v17 :: v_dual_lshrrev_b32 v17, v15, v17
	v_dual_add_nc_u32 v14, 1, v14 :: v_dual_add_nc_u32 v13, v13, v25
	v_cndmask_b32_e32 v17, v17, v19, vcc_lo
	s_delay_alu instid0(VALU_DEP_2) | instskip(NEXT) | instid1(VALU_DEP_2)
	v_cmp_ge_i32_e32 vcc_lo, v14, v11
	v_dual_sub_nc_u32 v15, v15, v25 :: v_dual_bitop2_b32 v3, v17, v3 bitop3:0x54
	s_or_b32 s16, vcc_lo, s16
	s_delay_alu instid0(SALU_CYCLE_1)
	s_and_not1_b32 exec_lo, exec_lo, s16
	s_cbranch_execnz .LBB2_28
; %bb.29:                               ;   in Loop: Header=BB2_19 Depth=2
	s_or_b32 exec_lo, exec_lo, s16
.LBB2_30:                               ;   in Loop: Header=BB2_19 Depth=2
	s_delay_alu instid0(SALU_CYCLE_1)
	s_or_b32 exec_lo, exec_lo, s12
.LBB2_31:                               ;   in Loop: Header=BB2_19 Depth=2
	s_delay_alu instid0(SALU_CYCLE_1)
	s_or_b32 exec_lo, exec_lo, s0
	v_cmp_lt_i32_e32 vcc_lo, v9, v16
	s_cbranch_vccz .LBB2_33
; %bb.32:                               ;   in Loop: Header=BB2_19 Depth=2
	v_mov_b32_e32 v18, v9
	s_branch .LBB2_19
.LBB2_33:                               ;   in Loop: Header=BB2_3 Depth=1
	v_ashrrev_i32_e32 v11, 31, v10
	s_mov_b32 s0, exec_lo
	s_delay_alu instid0(VALU_DEP_1)
	v_cmpx_gt_u64_e64 s[2:3], v[10:11]
	s_cbranch_execz .LBB2_2
; %bb.34:                               ;   in Loop: Header=BB2_3 Depth=1
	v_lshl_add_u64 v[6:7], v[6:7], 2, s[8:9]
	global_store_b32 v[6:7], v3, off
	s_branch .LBB2_2
.LBB2_35:                               ;   in Loop: Header=BB2_3 Depth=1
                                        ; implicit-def: $vgpr16_vgpr17
	s_branch .LBB2_13
.LBB2_36:                               ;   in Loop: Header=BB2_3 Depth=1
                                        ; implicit-def: $vgpr18_vgpr19
	s_branch .LBB2_16
.LBB2_37:
	s_endpgm
	.section	.rodata,"a",@progbits
	.p2align	6, 0x0
	.amdhsa_kernel _Z13bitPackKernelIcjEvPKhPKT_PT0_S4_PKm
		.amdhsa_group_segment_fixed_size 256
		.amdhsa_private_segment_fixed_size 0
		.amdhsa_kernarg_size 296
		.amdhsa_user_sgpr_count 2
		.amdhsa_user_sgpr_dispatch_ptr 0
		.amdhsa_user_sgpr_queue_ptr 0
		.amdhsa_user_sgpr_kernarg_segment_ptr 1
		.amdhsa_user_sgpr_dispatch_id 0
		.amdhsa_user_sgpr_kernarg_preload_length 0
		.amdhsa_user_sgpr_kernarg_preload_offset 0
		.amdhsa_user_sgpr_private_segment_size 0
		.amdhsa_wavefront_size32 1
		.amdhsa_uses_dynamic_stack 0
		.amdhsa_enable_private_segment 0
		.amdhsa_system_sgpr_workgroup_id_x 1
		.amdhsa_system_sgpr_workgroup_id_y 0
		.amdhsa_system_sgpr_workgroup_id_z 0
		.amdhsa_system_sgpr_workgroup_info 0
		.amdhsa_system_vgpr_workitem_id 0
		.amdhsa_next_free_vgpr 33
		.amdhsa_next_free_sgpr 26
		.amdhsa_named_barrier_count 0
		.amdhsa_reserve_vcc 1
		.amdhsa_float_round_mode_32 0
		.amdhsa_float_round_mode_16_64 0
		.amdhsa_float_denorm_mode_32 3
		.amdhsa_float_denorm_mode_16_64 3
		.amdhsa_fp16_overflow 0
		.amdhsa_memory_ordered 1
		.amdhsa_forward_progress 1
		.amdhsa_inst_pref_size 29
		.amdhsa_round_robin_scheduling 0
		.amdhsa_exception_fp_ieee_invalid_op 0
		.amdhsa_exception_fp_denorm_src 0
		.amdhsa_exception_fp_ieee_div_zero 0
		.amdhsa_exception_fp_ieee_overflow 0
		.amdhsa_exception_fp_ieee_underflow 0
		.amdhsa_exception_fp_ieee_inexact 0
		.amdhsa_exception_int_div_zero 0
	.end_amdhsa_kernel
	.section	.text._Z13bitPackKernelIcjEvPKhPKT_PT0_S4_PKm,"axG",@progbits,_Z13bitPackKernelIcjEvPKhPKT_PT0_S4_PKm,comdat
.Lfunc_end2:
	.size	_Z13bitPackKernelIcjEvPKhPKT_PT0_S4_PKm, .Lfunc_end2-_Z13bitPackKernelIcjEvPKhPKT_PT0_S4_PKm
                                        ; -- End function
	.set _Z13bitPackKernelIcjEvPKhPKT_PT0_S4_PKm.num_vgpr, 33
	.set _Z13bitPackKernelIcjEvPKhPKT_PT0_S4_PKm.num_agpr, 0
	.set _Z13bitPackKernelIcjEvPKhPKT_PT0_S4_PKm.numbered_sgpr, 26
	.set _Z13bitPackKernelIcjEvPKhPKT_PT0_S4_PKm.num_named_barrier, 0
	.set _Z13bitPackKernelIcjEvPKhPKT_PT0_S4_PKm.private_seg_size, 0
	.set _Z13bitPackKernelIcjEvPKhPKT_PT0_S4_PKm.uses_vcc, 1
	.set _Z13bitPackKernelIcjEvPKhPKT_PT0_S4_PKm.uses_flat_scratch, 0
	.set _Z13bitPackKernelIcjEvPKhPKT_PT0_S4_PKm.has_dyn_sized_stack, 0
	.set _Z13bitPackKernelIcjEvPKhPKT_PT0_S4_PKm.has_recursion, 0
	.set _Z13bitPackKernelIcjEvPKhPKT_PT0_S4_PKm.has_indirect_call, 0
	.section	.AMDGPU.csdata,"",@progbits
; Kernel info:
; codeLenInByte = 3704
; TotalNumSgprs: 28
; NumVgprs: 33
; ScratchSize: 0
; MemoryBound: 0
; FloatMode: 240
; IeeeMode: 1
; LDSByteSize: 256 bytes/workgroup (compile time only)
; SGPRBlocks: 0
; VGPRBlocks: 2
; NumSGPRsForWavesPerEU: 28
; NumVGPRsForWavesPerEU: 33
; NamedBarCnt: 0
; Occupancy: 16
; WaveLimiterHint : 0
; COMPUTE_PGM_RSRC2:SCRATCH_EN: 0
; COMPUTE_PGM_RSRC2:USER_SGPR: 2
; COMPUTE_PGM_RSRC2:TRAP_HANDLER: 0
; COMPUTE_PGM_RSRC2:TGID_X_EN: 1
; COMPUTE_PGM_RSRC2:TGID_Y_EN: 0
; COMPUTE_PGM_RSRC2:TGID_Z_EN: 0
; COMPUTE_PGM_RSRC2:TIDIG_COMP_CNT: 0
	.section	.text._Z23bitPackConfigScanKernelIhhEvPT_S1_PKT0_PKm,"axG",@progbits,_Z23bitPackConfigScanKernelIhhEvPT_S1_PKT0_PKm,comdat
	.protected	_Z23bitPackConfigScanKernelIhhEvPT_S1_PKT0_PKm ; -- Begin function _Z23bitPackConfigScanKernelIhhEvPT_S1_PKT0_PKm
	.globl	_Z23bitPackConfigScanKernelIhhEvPT_S1_PKT0_PKm
	.p2align	8
	.type	_Z23bitPackConfigScanKernelIhhEvPT_S1_PKT0_PKm,@function
_Z23bitPackConfigScanKernelIhhEvPT_S1_PKT0_PKm: ; @_Z23bitPackConfigScanKernelIhhEvPT_S1_PKT0_PKm
; %bb.0:
	s_load_b256 s[4:11], s[0:1], 0x0
	s_wait_kmcnt 0x0
	s_load_b64 s[2:3], s[10:11], 0x0
	s_wait_kmcnt 0x0
	s_and_b64 s[10:11], s[2:3], 0xff
	s_lshr_b64 s[12:13], s[2:3], 8
	s_cmp_lg_u64 s[10:11], 0
	s_cselect_b32 s3, -1, 0
	s_delay_alu instid0(SALU_CYCLE_1)
	s_cmp_lg_u32 s3, 0
	s_add_co_ci_u32 s10, s12, 0
	s_bfe_u32 s3, ttmp6, 0x4000c
	s_and_b32 s11, ttmp6, 15
	s_add_co_i32 s3, s3, 1
	s_getreg_b32 s12, hwreg(HW_REG_IB_STS2, 6, 4)
	s_mul_i32 s3, ttmp9, s3
	s_delay_alu instid0(SALU_CYCLE_1) | instskip(SKIP_2) | instid1(SALU_CYCLE_1)
	s_add_co_i32 s11, s11, s3
	s_cmp_eq_u32 s12, 0
	s_cselect_b32 s3, ttmp9, s11
	s_cmp_ge_u32 s3, s10
	s_cbranch_scc1 .LBB3_82
; %bb.1:
	s_cmp_lt_i32 s3, s10
	s_cbranch_scc1 .LBB3_83
; %bb.2:
	s_cbranch_execz .LBB3_84
; %bb.3:
	v_dual_mov_b32 v1, 0 :: v_dual_mov_b32 v2, 0
	s_mov_b32 s1, 0
.LBB3_4:
	ds_store_b8 v0, v1 offset:256
	ds_store_b8 v0, v2
	v_cmp_lt_u32_e32 vcc_lo, 0x7f, v0
	v_add_nc_u32_e32 v1, 0xffffff80, v0
	s_wait_dscnt 0x0
	s_barrier_signal -1
	s_barrier_wait -1
	s_and_saveexec_b32 s0, vcc_lo
	s_delay_alu instid0(SALU_CYCLE_1)
	s_xor_b32 s2, exec_lo, s0
	s_cbranch_execz .LBB3_8
; %bb.5:
	s_mov_b32 s8, exec_lo
	v_cmpx_gt_i32_e64 s1, v0
	s_cbranch_execz .LBB3_7
; %bb.6:
	ds_load_u8 v2, v1
	ds_load_u8 v3, v0
	s_wait_dscnt 0x0
	v_max_u16 v2, v2, v3
	ds_store_b8 v1, v2
.LBB3_7:
	s_or_b32 exec_lo, exec_lo, s8
.LBB3_8:
	s_and_not1_saveexec_b32 s2, s2
	s_cbranch_execz .LBB3_12
; %bb.9:
	v_or_b32_e32 v2, 0x80, v0
	s_mov_b32 s8, exec_lo
	s_delay_alu instid0(VALU_DEP_1)
	v_cmpx_gt_i32_e64 s1, v2
	s_cbranch_execz .LBB3_11
; %bb.10:
	ds_load_u8 v2, v0 offset:256
	ds_load_u8 v3, v0 offset:384
	s_wait_dscnt 0x0
	v_min_u16 v2, v2, v3
	ds_store_b8 v0, v2 offset:256
.LBB3_11:
	s_or_b32 exec_lo, exec_lo, s8
.LBB3_12:
	s_delay_alu instid0(SALU_CYCLE_1) | instskip(SKIP_4) | instid1(SALU_CYCLE_1)
	s_or_b32 exec_lo, exec_lo, s2
	s_wait_dscnt 0x0
	s_barrier_signal -1
	s_barrier_wait -1
	s_and_saveexec_b32 s0, vcc_lo
	s_xor_b32 s2, exec_lo, s0
	s_cbranch_execz .LBB3_17
; %bb.13:
	s_mov_b32 s8, exec_lo
	v_cmpx_gt_u32_e32 0xc0, v0
	s_cbranch_execz .LBB3_16
; %bb.14:
	v_subrev_nc_u32_e32 v2, 64, v0
	s_delay_alu instid0(VALU_DEP_1)
	v_cmp_gt_i32_e64 s0, s1, v2
	s_and_b32 exec_lo, exec_lo, s0
	s_cbranch_execz .LBB3_16
; %bb.15:
	ds_load_u8 v3, v1
	ds_load_u8 v2, v2
	s_wait_dscnt 0x0
	v_max_u16 v2, v3, v2
	ds_store_b8 v1, v2
.LBB3_16:
	s_or_b32 exec_lo, exec_lo, s8
.LBB3_17:
	s_and_not1_saveexec_b32 s2, s2
	s_cbranch_execz .LBB3_22
; %bb.18:
	s_mov_b32 s8, exec_lo
	v_cmpx_gt_u32_e32 64, v0
	s_cbranch_execz .LBB3_21
; %bb.19:
	v_or_b32_e32 v2, 64, v0
	s_delay_alu instid0(VALU_DEP_1)
	v_cmp_gt_i32_e64 s0, s1, v2
	s_and_b32 exec_lo, exec_lo, s0
	s_cbranch_execz .LBB3_21
; %bb.20:
	ds_load_u8 v2, v0 offset:256
	ds_load_u8 v3, v0 offset:320
	s_wait_dscnt 0x0
	v_min_u16 v2, v2, v3
	ds_store_b8 v0, v2 offset:256
.LBB3_21:
	s_or_b32 exec_lo, exec_lo, s8
.LBB3_22:
	s_delay_alu instid0(SALU_CYCLE_1) | instskip(SKIP_4) | instid1(SALU_CYCLE_1)
	s_or_b32 exec_lo, exec_lo, s2
	s_wait_dscnt 0x0
	s_barrier_signal -1
	s_barrier_wait -1
	s_and_saveexec_b32 s0, vcc_lo
	s_xor_b32 s2, exec_lo, s0
	s_cbranch_execz .LBB3_27
; %bb.23:
	s_mov_b32 s8, exec_lo
	v_cmpx_gt_u32_e32 0xa0, v0
	s_cbranch_execz .LBB3_26
; %bb.24:
	v_add_nc_u32_e32 v2, 0xffffffa0, v0
	s_delay_alu instid0(VALU_DEP_1)
	v_cmp_gt_i32_e64 s0, s1, v2
	s_and_b32 exec_lo, exec_lo, s0
	s_cbranch_execz .LBB3_26
; %bb.25:
	ds_load_u8 v3, v1
	ds_load_u8 v2, v2
	s_wait_dscnt 0x0
	v_max_u16 v2, v3, v2
	ds_store_b8 v1, v2
.LBB3_26:
	s_or_b32 exec_lo, exec_lo, s8
.LBB3_27:
	s_and_not1_saveexec_b32 s2, s2
	s_cbranch_execz .LBB3_32
; %bb.28:
	s_mov_b32 s8, exec_lo
	v_cmpx_gt_u32_e32 32, v0
	s_cbranch_execz .LBB3_31
; %bb.29:
	v_or_b32_e32 v2, 32, v0
	s_delay_alu instid0(VALU_DEP_1)
	v_cmp_gt_i32_e64 s0, s1, v2
	s_and_b32 exec_lo, exec_lo, s0
	s_cbranch_execz .LBB3_31
; %bb.30:
	ds_load_u8 v2, v0 offset:256
	ds_load_u8 v3, v0 offset:288
	s_wait_dscnt 0x0
	v_min_u16 v2, v2, v3
	ds_store_b8 v0, v2 offset:256
.LBB3_31:
	s_or_b32 exec_lo, exec_lo, s8
.LBB3_32:
	s_delay_alu instid0(SALU_CYCLE_1) | instskip(SKIP_4) | instid1(SALU_CYCLE_1)
	s_or_b32 exec_lo, exec_lo, s2
	s_wait_dscnt 0x0
	s_barrier_signal -1
	s_barrier_wait -1
	s_and_saveexec_b32 s0, vcc_lo
	s_xor_b32 s2, exec_lo, s0
	s_cbranch_execz .LBB3_37
; %bb.33:
	s_mov_b32 s8, exec_lo
	v_cmpx_gt_u32_e32 0x90, v0
	s_cbranch_execz .LBB3_36
; %bb.34:
	v_add_nc_u32_e32 v2, 0xffffff90, v0
	s_delay_alu instid0(VALU_DEP_1)
	v_cmp_gt_i32_e64 s0, s1, v2
	s_and_b32 exec_lo, exec_lo, s0
	s_cbranch_execz .LBB3_36
; %bb.35:
	ds_load_u8 v3, v1
	ds_load_u8 v2, v2
	s_wait_dscnt 0x0
	v_max_u16 v2, v3, v2
	ds_store_b8 v1, v2
.LBB3_36:
	s_or_b32 exec_lo, exec_lo, s8
.LBB3_37:
	;; [unrolled: 48-line block ×5, first 2 shown]
	s_and_not1_saveexec_b32 s2, s2
	s_cbranch_execz .LBB3_72
; %bb.68:
	s_mov_b32 s8, exec_lo
	v_cmpx_gt_u32_e32 2, v0
	s_cbranch_execz .LBB3_71
; %bb.69:
	v_or_b32_e32 v2, 2, v0
	s_delay_alu instid0(VALU_DEP_1)
	v_cmp_gt_i32_e64 s0, s1, v2
	s_and_b32 exec_lo, exec_lo, s0
	s_cbranch_execz .LBB3_71
; %bb.70:
	ds_load_u8 v2, v0 offset:256
	ds_load_u8 v3, v0 offset:258
	s_wait_dscnt 0x0
	v_min_u16 v2, v2, v3
	ds_store_b8 v0, v2 offset:256
.LBB3_71:
	s_or_b32 exec_lo, exec_lo, s8
.LBB3_72:
	s_delay_alu instid0(SALU_CYCLE_1)
	s_or_b32 exec_lo, exec_lo, s2
	s_cmp_gt_i32 s1, 1
	s_wait_dscnt 0x0
	s_cselect_b32 s0, -1, 0
	s_barrier_signal -1
	s_barrier_wait -1
	s_and_saveexec_b32 s1, vcc_lo
	s_delay_alu instid0(SALU_CYCLE_1)
	s_xor_b32 s1, exec_lo, s1
	s_cbranch_execz .LBB3_76
; %bb.73:
	v_cmp_eq_u32_e32 vcc_lo, 0x80, v0
	s_and_b32 s8, vcc_lo, s0
	s_delay_alu instid0(SALU_CYCLE_1)
	s_and_saveexec_b32 s2, s8
	s_cbranch_execz .LBB3_75
; %bb.74:
	v_mov_b32_e32 v2, 0
	ds_load_u8 v3, v1
	ds_load_u8 v2, v2 offset:1
	s_wait_dscnt 0x0
	v_max_u16 v2, v3, v2
	ds_store_b8 v1, v2
.LBB3_75:
	s_or_b32 exec_lo, exec_lo, s2
.LBB3_76:
	s_and_not1_saveexec_b32 s1, s1
	s_cbranch_execz .LBB3_80
; %bb.77:
	v_cmp_eq_u32_e32 vcc_lo, 0, v0
	s_and_b32 s2, vcc_lo, s0
	s_delay_alu instid0(SALU_CYCLE_1)
	s_and_saveexec_b32 s0, s2
	s_cbranch_execz .LBB3_79
; %bb.78:
	v_mov_b32_e32 v1, 0
	ds_load_u8 v2, v0 offset:256
	ds_load_u8 v1, v1 offset:257
	s_wait_dscnt 0x0
	v_min_u16 v1, v2, v1
	ds_store_b8 v0, v1 offset:256
.LBB3_79:
	s_or_b32 exec_lo, exec_lo, s0
.LBB3_80:
	s_delay_alu instid0(SALU_CYCLE_1)
	s_or_b32 exec_lo, exec_lo, s1
	s_wait_dscnt 0x0
	s_barrier_signal -1
	s_barrier_wait -1
	s_mov_b32 s0, exec_lo
	v_cmpx_eq_u32_e32 0, v0
	s_cbranch_execz .LBB3_82
; %bb.81:
	v_dual_mov_b32 v0, 0 :: v_dual_mov_b32 v2, s3
	ds_load_u8 v1, v0 offset:256
	ds_load_u8 v0, v0
	s_wait_dscnt 0x1
	global_store_b8 v2, v1, s[4:5]
	s_wait_dscnt 0x0
	global_store_b8 v2, v0, s[6:7]
.LBB3_82:
	s_endpgm
.LBB3_83:
.LBB3_84:
	s_load_b32 s0, s[0:1], 0x20
	s_wait_xcnt 0x0
	s_lshl_b32 s1, s3, 8
	v_dual_mov_b32 v1, 0 :: v_dual_mov_b32 v2, 0
	v_add_nc_u32_e32 v3, s1, v0
	s_mov_b32 s11, 0
	s_sub_co_i32 s2, s2, s1
	s_mov_b32 s1, 0
	s_wait_kmcnt 0x0
	s_lshl_b32 s12, s0, 8
	s_branch .LBB3_86
.LBB3_85:                               ;   in Loop: Header=BB3_86 Depth=1
	s_or_b32 exec_lo, exec_lo, s14
	s_add_co_i32 s11, s11, s0
	v_add_nc_u32_e32 v3, s12, v3
	s_max_i32 s1, s1, s13
	s_add_co_i32 s13, s3, s11
	s_sub_co_i32 s2, s2, s12
	s_cmp_ge_i32 s13, s10
	s_cbranch_scc1 .LBB3_4
.LBB3_86:                               ; =>This Inner Loop Header: Depth=1
	s_min_i32 s13, s2, 0x100
	s_mov_b32 s14, exec_lo
	v_cmpx_gt_u32_e64 s13, v0
	s_cbranch_execz .LBB3_85
; %bb.87:                               ;   in Loop: Header=BB3_86 Depth=1
	global_load_u8 v4, v3, s[8:9]
	v_and_b32_e32 v2, 0xff, v2
	v_and_b32_e32 v1, 0xff, v1
	s_cmp_eq_u32 s11, 0
	s_cselect_b32 vcc_lo, -1, 0
	s_wait_loadcnt 0x0
	v_max_u16 v2, v4, v2
	v_min_u16 v1, v4, v1
	s_delay_alu instid0(VALU_DEP_1)
	v_dual_cndmask_b32 v2, v2, v4 :: v_dual_cndmask_b32 v1, v1, v4
	s_branch .LBB3_85
	.section	.rodata,"a",@progbits
	.p2align	6, 0x0
	.amdhsa_kernel _Z23bitPackConfigScanKernelIhhEvPT_S1_PKT0_PKm
		.amdhsa_group_segment_fixed_size 512
		.amdhsa_private_segment_fixed_size 0
		.amdhsa_kernarg_size 288
		.amdhsa_user_sgpr_count 2
		.amdhsa_user_sgpr_dispatch_ptr 0
		.amdhsa_user_sgpr_queue_ptr 0
		.amdhsa_user_sgpr_kernarg_segment_ptr 1
		.amdhsa_user_sgpr_dispatch_id 0
		.amdhsa_user_sgpr_kernarg_preload_length 0
		.amdhsa_user_sgpr_kernarg_preload_offset 0
		.amdhsa_user_sgpr_private_segment_size 0
		.amdhsa_wavefront_size32 1
		.amdhsa_uses_dynamic_stack 0
		.amdhsa_enable_private_segment 0
		.amdhsa_system_sgpr_workgroup_id_x 1
		.amdhsa_system_sgpr_workgroup_id_y 0
		.amdhsa_system_sgpr_workgroup_id_z 0
		.amdhsa_system_sgpr_workgroup_info 0
		.amdhsa_system_vgpr_workitem_id 0
		.amdhsa_next_free_vgpr 5
		.amdhsa_next_free_sgpr 15
		.amdhsa_named_barrier_count 0
		.amdhsa_reserve_vcc 1
		.amdhsa_float_round_mode_32 0
		.amdhsa_float_round_mode_16_64 0
		.amdhsa_float_denorm_mode_32 3
		.amdhsa_float_denorm_mode_16_64 3
		.amdhsa_fp16_overflow 0
		.amdhsa_memory_ordered 1
		.amdhsa_forward_progress 1
		.amdhsa_inst_pref_size 16
		.amdhsa_round_robin_scheduling 0
		.amdhsa_exception_fp_ieee_invalid_op 0
		.amdhsa_exception_fp_denorm_src 0
		.amdhsa_exception_fp_ieee_div_zero 0
		.amdhsa_exception_fp_ieee_overflow 0
		.amdhsa_exception_fp_ieee_underflow 0
		.amdhsa_exception_fp_ieee_inexact 0
		.amdhsa_exception_int_div_zero 0
	.end_amdhsa_kernel
	.section	.text._Z23bitPackConfigScanKernelIhhEvPT_S1_PKT0_PKm,"axG",@progbits,_Z23bitPackConfigScanKernelIhhEvPT_S1_PKT0_PKm,comdat
.Lfunc_end3:
	.size	_Z23bitPackConfigScanKernelIhhEvPT_S1_PKT0_PKm, .Lfunc_end3-_Z23bitPackConfigScanKernelIhhEvPT_S1_PKT0_PKm
                                        ; -- End function
	.set _Z23bitPackConfigScanKernelIhhEvPT_S1_PKT0_PKm.num_vgpr, 5
	.set _Z23bitPackConfigScanKernelIhhEvPT_S1_PKT0_PKm.num_agpr, 0
	.set _Z23bitPackConfigScanKernelIhhEvPT_S1_PKT0_PKm.numbered_sgpr, 15
	.set _Z23bitPackConfigScanKernelIhhEvPT_S1_PKT0_PKm.num_named_barrier, 0
	.set _Z23bitPackConfigScanKernelIhhEvPT_S1_PKT0_PKm.private_seg_size, 0
	.set _Z23bitPackConfigScanKernelIhhEvPT_S1_PKT0_PKm.uses_vcc, 1
	.set _Z23bitPackConfigScanKernelIhhEvPT_S1_PKT0_PKm.uses_flat_scratch, 0
	.set _Z23bitPackConfigScanKernelIhhEvPT_S1_PKT0_PKm.has_dyn_sized_stack, 0
	.set _Z23bitPackConfigScanKernelIhhEvPT_S1_PKT0_PKm.has_recursion, 0
	.set _Z23bitPackConfigScanKernelIhhEvPT_S1_PKT0_PKm.has_indirect_call, 0
	.section	.AMDGPU.csdata,"",@progbits
; Kernel info:
; codeLenInByte = 1976
; TotalNumSgprs: 17
; NumVgprs: 5
; ScratchSize: 0
; MemoryBound: 0
; FloatMode: 240
; IeeeMode: 1
; LDSByteSize: 512 bytes/workgroup (compile time only)
; SGPRBlocks: 0
; VGPRBlocks: 0
; NumSGPRsForWavesPerEU: 17
; NumVGPRsForWavesPerEU: 5
; NamedBarCnt: 0
; Occupancy: 16
; WaveLimiterHint : 0
; COMPUTE_PGM_RSRC2:SCRATCH_EN: 0
; COMPUTE_PGM_RSRC2:USER_SGPR: 2
; COMPUTE_PGM_RSRC2:TRAP_HANDLER: 0
; COMPUTE_PGM_RSRC2:TGID_X_EN: 1
; COMPUTE_PGM_RSRC2:TGID_Y_EN: 0
; COMPUTE_PGM_RSRC2:TGID_Z_EN: 0
; COMPUTE_PGM_RSRC2:TIDIG_COMP_CNT: 0
	.section	.text._Z27bitPackConfigFinalizeKernelIhhEvPKT_S2_PhPT0_PKm,"axG",@progbits,_Z27bitPackConfigFinalizeKernelIhhEvPKT_S2_PhPT0_PKm,comdat
	.protected	_Z27bitPackConfigFinalizeKernelIhhEvPKT_S2_PhPT0_PKm ; -- Begin function _Z27bitPackConfigFinalizeKernelIhhEvPKT_S2_PhPT0_PKm
	.globl	_Z27bitPackConfigFinalizeKernelIhhEvPKT_S2_PhPT0_PKm
	.p2align	8
	.type	_Z27bitPackConfigFinalizeKernelIhhEvPKT_S2_PhPT0_PKm,@function
_Z27bitPackConfigFinalizeKernelIhhEvPKT_S2_PhPT0_PKm: ; @_Z27bitPackConfigFinalizeKernelIhhEvPKT_S2_PhPT0_PKm
; %bb.0:
	s_load_b64 s[2:3], s[0:1], 0x20
	s_wait_kmcnt 0x0
	s_load_b64 s[2:3], s[2:3], 0x0
	s_wait_kmcnt 0x0
	s_and_b64 s[4:5], s[2:3], 0xff
	s_lshr_b64 s[2:3], s[2:3], 8
	s_cmp_lg_u64 s[4:5], 0
	s_mov_b32 s4, 0
	s_cselect_b32 s5, -1, 0
	v_mov_b32_e32 v3, s4
	v_cndmask_b32_e64 v2, 0, 1, s5
	s_load_b256 s[4:11], s[0:1], 0x0
	s_wait_xcnt 0x0
	s_mov_b32 s1, exec_lo
	s_delay_alu instid0(VALU_DEP_1) | instskip(NEXT) | instid1(VALU_DEP_1)
	v_add_nc_u64_e32 v[2:3], s[2:3], v[2:3]
	v_min_u64 v[4:5], 0x1000, v[2:3]
	s_delay_alu instid0(VALU_DEP_1)
	v_cmpx_lt_u32_e64 v0, v4
	s_cbranch_execz .LBB4_6
; %bb.1:
	s_wait_kmcnt 0x0
	s_clause 0x1
	global_load_u8 v8, v0, s[4:5]
	global_load_u8 v5, v0, s[6:7]
	v_add_nc_u32_e32 v1, 0x100, v0
	s_mov_b32 s12, exec_lo
	s_wait_xcnt 0x0
	s_delay_alu instid0(VALU_DEP_1)
	v_cmpx_lt_u32_e64 v1, v4
	s_cbranch_execz .LBB4_5
; %bb.2:
	v_mov_b32_e32 v1, 0
	s_add_nc_u64 s[2:3], s[4:5], 0x100
	s_add_nc_u64 s[4:5], s[6:7], 0x100
	s_mov_b32 s6, 0
	s_delay_alu instid0(VALU_DEP_1)
	v_mov_b64_e32 v[6:7], v[0:1]
.LBB4_3:                                ; =>This Inner Loop Header: Depth=1
	s_delay_alu instid0(VALU_DEP_1)
	v_add_nc_u64_e32 v[10:11], s[2:3], v[6:7]
	v_add_nc_u64_e32 v[12:13], s[4:5], v[6:7]
	s_wait_loadcnt 0x1
	v_and_b32_e32 v8, 0xff, v8
	s_wait_loadcnt 0x0
	v_and_b32_e32 v5, 0xff, v5
	global_load_u8 v1, v[10:11], off
	global_load_u8 v9, v[12:13], off
	s_wait_xcnt 0x1
	v_add_nc_u64_e32 v[10:11], 0x100, v[6:7]
	v_add_nc_u32_e32 v6, 0x200, v6
	s_delay_alu instid0(VALU_DEP_1) | instskip(NEXT) | instid1(VALU_DEP_3)
	v_cmp_ge_u32_e32 vcc_lo, v6, v4
	v_cmp_lt_u32_e64 s0, 0xeff, v10
	s_delay_alu instid0(VALU_DEP_4) | instskip(SKIP_1) | instid1(SALU_CYCLE_1)
	v_mov_b64_e32 v[6:7], v[10:11]
	s_or_b32 s0, s0, vcc_lo
	s_and_b32 s0, exec_lo, s0
	s_delay_alu instid0(SALU_CYCLE_1)
	s_or_b32 s6, s0, s6
	s_wait_loadcnt 0x1
	v_min_u16 v8, v1, v8
	s_wait_loadcnt 0x0
	v_max_u16 v5, v9, v5
	s_and_not1_b32 exec_lo, exec_lo, s6
	s_cbranch_execnz .LBB4_3
; %bb.4:
	s_or_b32 exec_lo, exec_lo, s6
.LBB4_5:
	s_delay_alu instid0(SALU_CYCLE_1)
	s_or_b32 exec_lo, exec_lo, s12
	s_wait_loadcnt 0x1
	ds_store_b8 v0, v8 offset:256
	s_wait_loadcnt 0x0
	ds_store_b8 v0, v5
.LBB4_6:
	s_or_b32 exec_lo, exec_lo, s1
	v_min_u32_e32 v4, 0x100, v4
	v_cmp_lt_u32_e32 vcc_lo, 0x7f, v0
	v_add_nc_u32_e32 v1, 0xffffff80, v0
	s_wait_dscnt 0x0
	s_barrier_signal -1
	s_barrier_wait -1
	s_and_saveexec_b32 s0, vcc_lo
	s_delay_alu instid0(SALU_CYCLE_1)
	s_xor_b32 s1, exec_lo, s0
	s_cbranch_execz .LBB4_10
; %bb.7:
	s_mov_b32 s2, exec_lo
	v_cmpx_lt_u32_e64 v0, v4
	s_cbranch_execz .LBB4_9
; %bb.8:
	ds_load_u8 v5, v1
	ds_load_u8 v6, v0
	s_wait_dscnt 0x0
	v_max_u16 v5, v5, v6
	ds_store_b8 v1, v5
.LBB4_9:
	s_or_b32 exec_lo, exec_lo, s2
.LBB4_10:
	s_and_not1_saveexec_b32 s1, s1
	s_cbranch_execz .LBB4_14
; %bb.11:
	v_or_b32_e32 v5, 0x80, v0
	s_mov_b32 s2, exec_lo
	s_delay_alu instid0(VALU_DEP_1)
	v_cmpx_lt_u32_e64 v5, v4
	s_cbranch_execz .LBB4_13
; %bb.12:
	ds_load_u8 v5, v0 offset:256
	ds_load_u8 v6, v0 offset:384
	s_wait_dscnt 0x0
	v_min_u16 v5, v5, v6
	ds_store_b8 v0, v5 offset:256
.LBB4_13:
	s_or_b32 exec_lo, exec_lo, s2
.LBB4_14:
	s_delay_alu instid0(SALU_CYCLE_1) | instskip(SKIP_4) | instid1(SALU_CYCLE_1)
	s_or_b32 exec_lo, exec_lo, s1
	s_wait_dscnt 0x0
	s_barrier_signal -1
	s_barrier_wait -1
	s_and_saveexec_b32 s0, vcc_lo
	s_xor_b32 s1, exec_lo, s0
	s_cbranch_execz .LBB4_19
; %bb.15:
	s_mov_b32 s2, exec_lo
	v_cmpx_gt_u32_e32 0xc0, v0
	s_cbranch_execz .LBB4_18
; %bb.16:
	v_subrev_nc_u32_e32 v5, 64, v0
	s_delay_alu instid0(VALU_DEP_1)
	v_cmp_lt_u32_e64 s0, v5, v4
	s_and_b32 exec_lo, exec_lo, s0
	s_cbranch_execz .LBB4_18
; %bb.17:
	ds_load_u8 v6, v1
	ds_load_u8 v5, v5
	s_wait_dscnt 0x0
	v_max_u16 v5, v6, v5
	ds_store_b8 v1, v5
.LBB4_18:
	s_or_b32 exec_lo, exec_lo, s2
.LBB4_19:
	s_and_not1_saveexec_b32 s1, s1
	s_cbranch_execz .LBB4_24
; %bb.20:
	s_mov_b32 s2, exec_lo
	v_cmpx_gt_u32_e32 64, v0
	s_cbranch_execz .LBB4_23
; %bb.21:
	v_or_b32_e32 v5, 64, v0
	s_delay_alu instid0(VALU_DEP_1)
	v_cmp_lt_u32_e64 s0, v5, v4
	s_and_b32 exec_lo, exec_lo, s0
	s_cbranch_execz .LBB4_23
; %bb.22:
	ds_load_u8 v5, v0 offset:256
	ds_load_u8 v6, v0 offset:320
	s_wait_dscnt 0x0
	v_min_u16 v5, v5, v6
	ds_store_b8 v0, v5 offset:256
.LBB4_23:
	s_or_b32 exec_lo, exec_lo, s2
.LBB4_24:
	s_delay_alu instid0(SALU_CYCLE_1) | instskip(SKIP_4) | instid1(SALU_CYCLE_1)
	s_or_b32 exec_lo, exec_lo, s1
	s_wait_dscnt 0x0
	s_barrier_signal -1
	s_barrier_wait -1
	s_and_saveexec_b32 s0, vcc_lo
	s_xor_b32 s1, exec_lo, s0
	s_cbranch_execz .LBB4_29
; %bb.25:
	s_mov_b32 s2, exec_lo
	v_cmpx_gt_u32_e32 0xa0, v0
	s_cbranch_execz .LBB4_28
; %bb.26:
	v_add_nc_u32_e32 v5, 0xffffffa0, v0
	s_delay_alu instid0(VALU_DEP_1)
	v_cmp_lt_u32_e64 s0, v5, v4
	s_and_b32 exec_lo, exec_lo, s0
	s_cbranch_execz .LBB4_28
; %bb.27:
	ds_load_u8 v6, v1
	ds_load_u8 v5, v5
	s_wait_dscnt 0x0
	v_max_u16 v5, v6, v5
	ds_store_b8 v1, v5
.LBB4_28:
	s_or_b32 exec_lo, exec_lo, s2
.LBB4_29:
	s_and_not1_saveexec_b32 s1, s1
	s_cbranch_execz .LBB4_34
; %bb.30:
	s_mov_b32 s2, exec_lo
	v_cmpx_gt_u32_e32 32, v0
	s_cbranch_execz .LBB4_33
; %bb.31:
	v_or_b32_e32 v5, 32, v0
	s_delay_alu instid0(VALU_DEP_1)
	v_cmp_lt_u32_e64 s0, v5, v4
	s_and_b32 exec_lo, exec_lo, s0
	s_cbranch_execz .LBB4_33
; %bb.32:
	ds_load_u8 v5, v0 offset:256
	ds_load_u8 v6, v0 offset:288
	s_wait_dscnt 0x0
	v_min_u16 v5, v5, v6
	ds_store_b8 v0, v5 offset:256
.LBB4_33:
	s_or_b32 exec_lo, exec_lo, s2
.LBB4_34:
	s_delay_alu instid0(SALU_CYCLE_1) | instskip(SKIP_4) | instid1(SALU_CYCLE_1)
	s_or_b32 exec_lo, exec_lo, s1
	s_wait_dscnt 0x0
	s_barrier_signal -1
	s_barrier_wait -1
	s_and_saveexec_b32 s0, vcc_lo
	s_xor_b32 s1, exec_lo, s0
	s_cbranch_execz .LBB4_39
; %bb.35:
	s_mov_b32 s2, exec_lo
	v_cmpx_gt_u32_e32 0x90, v0
	s_cbranch_execz .LBB4_38
; %bb.36:
	v_add_nc_u32_e32 v5, 0xffffff90, v0
	s_delay_alu instid0(VALU_DEP_1)
	v_cmp_lt_u32_e64 s0, v5, v4
	s_and_b32 exec_lo, exec_lo, s0
	s_cbranch_execz .LBB4_38
; %bb.37:
	ds_load_u8 v6, v1
	ds_load_u8 v5, v5
	s_wait_dscnt 0x0
	v_max_u16 v5, v6, v5
	ds_store_b8 v1, v5
.LBB4_38:
	s_or_b32 exec_lo, exec_lo, s2
.LBB4_39:
	;; [unrolled: 48-line block ×4, first 2 shown]
	s_and_not1_saveexec_b32 s1, s1
	s_cbranch_execz .LBB4_64
; %bb.60:
	s_mov_b32 s2, exec_lo
	v_cmpx_gt_u32_e32 4, v0
	s_cbranch_execz .LBB4_63
; %bb.61:
	v_or_b32_e32 v5, 4, v0
	s_delay_alu instid0(VALU_DEP_1)
	v_cmp_lt_u32_e64 s0, v5, v4
	s_and_b32 exec_lo, exec_lo, s0
	s_cbranch_execz .LBB4_63
; %bb.62:
	ds_load_u8 v5, v0 offset:256
	ds_load_u8 v6, v0 offset:260
	s_wait_dscnt 0x0
	v_min_u16 v5, v5, v6
	ds_store_b8 v0, v5 offset:256
.LBB4_63:
	s_or_b32 exec_lo, exec_lo, s2
.LBB4_64:
	s_delay_alu instid0(SALU_CYCLE_1) | instskip(SKIP_4) | instid1(SALU_CYCLE_1)
	s_or_b32 exec_lo, exec_lo, s1
	s_wait_dscnt 0x0
	s_barrier_signal -1
	s_barrier_wait -1
	s_and_saveexec_b32 s0, vcc_lo
	s_xor_b32 s1, exec_lo, s0
	s_cbranch_execz .LBB4_69
; %bb.65:
	s_mov_b32 s2, exec_lo
	v_cmpx_gt_u32_e32 0x82, v0
	s_cbranch_execz .LBB4_68
; %bb.66:
	v_add_nc_u32_e32 v5, 0xffffff82, v0
	s_delay_alu instid0(VALU_DEP_1)
	v_cmp_lt_u32_e64 s0, v5, v4
	s_and_b32 exec_lo, exec_lo, s0
	s_cbranch_execz .LBB4_68
; %bb.67:
	ds_load_u8 v4, v1
	ds_load_u8 v5, v5
	s_wait_dscnt 0x0
	v_max_u16 v4, v4, v5
	ds_store_b8 v1, v4
.LBB4_68:
	s_or_b32 exec_lo, exec_lo, s2
                                        ; implicit-def: $vgpr4
.LBB4_69:
	s_and_not1_saveexec_b32 s1, s1
	s_cbranch_execz .LBB4_74
; %bb.70:
	s_mov_b32 s2, exec_lo
	v_cmpx_gt_u32_e32 2, v0
	s_cbranch_execz .LBB4_73
; %bb.71:
	v_or_b32_e32 v5, 2, v0
	s_delay_alu instid0(VALU_DEP_1)
	v_cmp_lt_u32_e64 s0, v5, v4
	s_and_b32 exec_lo, exec_lo, s0
	s_cbranch_execz .LBB4_73
; %bb.72:
	ds_load_u8 v4, v0 offset:256
	ds_load_u8 v5, v0 offset:258
	s_wait_dscnt 0x0
	v_min_u16 v4, v4, v5
	ds_store_b8 v0, v4 offset:256
.LBB4_73:
	s_or_b32 exec_lo, exec_lo, s2
.LBB4_74:
	s_delay_alu instid0(SALU_CYCLE_1)
	s_or_b32 exec_lo, exec_lo, s1
	v_cmp_lt_u64_e64 s0, 1, v[2:3]
	s_wait_dscnt 0x0
	s_barrier_signal -1
	s_barrier_wait -1
	s_and_saveexec_b32 s1, vcc_lo
	s_delay_alu instid0(SALU_CYCLE_1)
	s_xor_b32 s1, exec_lo, s1
	s_cbranch_execz .LBB4_78
; %bb.75:
	v_cmp_eq_u32_e32 vcc_lo, 0x80, v0
	s_and_b32 s3, vcc_lo, s0
	s_delay_alu instid0(SALU_CYCLE_1)
	s_and_saveexec_b32 s2, s3
	s_cbranch_execz .LBB4_77
; %bb.76:
	v_mov_b32_e32 v2, 0
	ds_load_u8 v3, v1
	ds_load_u8 v2, v2 offset:1
	s_wait_dscnt 0x0
	v_max_u16 v2, v3, v2
	ds_store_b8 v1, v2
.LBB4_77:
	s_or_b32 exec_lo, exec_lo, s2
.LBB4_78:
	s_and_not1_saveexec_b32 s1, s1
	s_cbranch_execz .LBB4_82
; %bb.79:
	v_cmp_eq_u32_e32 vcc_lo, 0, v0
	s_and_b32 s2, vcc_lo, s0
	s_delay_alu instid0(SALU_CYCLE_1)
	s_and_saveexec_b32 s0, s2
	s_cbranch_execz .LBB4_81
; %bb.80:
	v_mov_b32_e32 v1, 0
	ds_load_u8 v2, v0 offset:256
	ds_load_u8 v1, v1 offset:257
	s_wait_dscnt 0x0
	v_min_u16 v1, v2, v1
	ds_store_b8 v0, v1 offset:256
.LBB4_81:
	s_or_b32 exec_lo, exec_lo, s0
.LBB4_82:
	s_delay_alu instid0(SALU_CYCLE_1)
	s_or_b32 exec_lo, exec_lo, s1
	s_wait_dscnt 0x0
	s_barrier_signal -1
	s_barrier_wait -1
	s_mov_b32 s0, exec_lo
	v_cmpx_eq_u32_e32 0, v0
	s_cbranch_execz .LBB4_84
; %bb.83:
	v_mov_b32_e32 v0, 0
	ds_load_u8 v1, v0 offset:256
	ds_load_u8 v2, v0
	s_wait_dscnt 0x1
	v_and_b32_e32 v3, 0xff, v1
	s_wait_dscnt 0x0
	s_delay_alu instid0(VALU_DEP_1) | instskip(NEXT) | instid1(VALU_DEP_1)
	v_sub_nc_u32_e32 v2, v2, v3
	v_clz_i32_u32_e32 v2, v2
	s_delay_alu instid0(VALU_DEP_1) | instskip(NEXT) | instid1(VALU_DEP_1)
	v_min_u32_e32 v2, 0xffff, v2
	v_sub_nc_u16 v2, 32, v2 clamp
	s_wait_kmcnt 0x0
	s_clause 0x1
	global_store_b8 v0, v1, s[10:11]
	global_store_b8 v0, v2, s[8:9]
.LBB4_84:
	s_endpgm
	.section	.rodata,"a",@progbits
	.p2align	6, 0x0
	.amdhsa_kernel _Z27bitPackConfigFinalizeKernelIhhEvPKT_S2_PhPT0_PKm
		.amdhsa_group_segment_fixed_size 512
		.amdhsa_private_segment_fixed_size 0
		.amdhsa_kernarg_size 40
		.amdhsa_user_sgpr_count 2
		.amdhsa_user_sgpr_dispatch_ptr 0
		.amdhsa_user_sgpr_queue_ptr 0
		.amdhsa_user_sgpr_kernarg_segment_ptr 1
		.amdhsa_user_sgpr_dispatch_id 0
		.amdhsa_user_sgpr_kernarg_preload_length 0
		.amdhsa_user_sgpr_kernarg_preload_offset 0
		.amdhsa_user_sgpr_private_segment_size 0
		.amdhsa_wavefront_size32 1
		.amdhsa_uses_dynamic_stack 0
		.amdhsa_enable_private_segment 0
		.amdhsa_system_sgpr_workgroup_id_x 1
		.amdhsa_system_sgpr_workgroup_id_y 0
		.amdhsa_system_sgpr_workgroup_id_z 0
		.amdhsa_system_sgpr_workgroup_info 0
		.amdhsa_system_vgpr_workitem_id 0
		.amdhsa_next_free_vgpr 14
		.amdhsa_next_free_sgpr 13
		.amdhsa_named_barrier_count 0
		.amdhsa_reserve_vcc 1
		.amdhsa_float_round_mode_32 0
		.amdhsa_float_round_mode_16_64 0
		.amdhsa_float_denorm_mode_32 3
		.amdhsa_float_denorm_mode_16_64 3
		.amdhsa_fp16_overflow 0
		.amdhsa_memory_ordered 1
		.amdhsa_forward_progress 1
		.amdhsa_inst_pref_size 17
		.amdhsa_round_robin_scheduling 0
		.amdhsa_exception_fp_ieee_invalid_op 0
		.amdhsa_exception_fp_denorm_src 0
		.amdhsa_exception_fp_ieee_div_zero 0
		.amdhsa_exception_fp_ieee_overflow 0
		.amdhsa_exception_fp_ieee_underflow 0
		.amdhsa_exception_fp_ieee_inexact 0
		.amdhsa_exception_int_div_zero 0
	.end_amdhsa_kernel
	.section	.text._Z27bitPackConfigFinalizeKernelIhhEvPKT_S2_PhPT0_PKm,"axG",@progbits,_Z27bitPackConfigFinalizeKernelIhhEvPKT_S2_PhPT0_PKm,comdat
.Lfunc_end4:
	.size	_Z27bitPackConfigFinalizeKernelIhhEvPKT_S2_PhPT0_PKm, .Lfunc_end4-_Z27bitPackConfigFinalizeKernelIhhEvPKT_S2_PhPT0_PKm
                                        ; -- End function
	.set _Z27bitPackConfigFinalizeKernelIhhEvPKT_S2_PhPT0_PKm.num_vgpr, 14
	.set _Z27bitPackConfigFinalizeKernelIhhEvPKT_S2_PhPT0_PKm.num_agpr, 0
	.set _Z27bitPackConfigFinalizeKernelIhhEvPKT_S2_PhPT0_PKm.numbered_sgpr, 13
	.set _Z27bitPackConfigFinalizeKernelIhhEvPKT_S2_PhPT0_PKm.num_named_barrier, 0
	.set _Z27bitPackConfigFinalizeKernelIhhEvPKT_S2_PhPT0_PKm.private_seg_size, 0
	.set _Z27bitPackConfigFinalizeKernelIhhEvPKT_S2_PhPT0_PKm.uses_vcc, 1
	.set _Z27bitPackConfigFinalizeKernelIhhEvPKT_S2_PhPT0_PKm.uses_flat_scratch, 0
	.set _Z27bitPackConfigFinalizeKernelIhhEvPKT_S2_PhPT0_PKm.has_dyn_sized_stack, 0
	.set _Z27bitPackConfigFinalizeKernelIhhEvPKT_S2_PhPT0_PKm.has_recursion, 0
	.set _Z27bitPackConfigFinalizeKernelIhhEvPKT_S2_PhPT0_PKm.has_indirect_call, 0
	.section	.AMDGPU.csdata,"",@progbits
; Kernel info:
; codeLenInByte = 2104
; TotalNumSgprs: 15
; NumVgprs: 14
; ScratchSize: 0
; MemoryBound: 0
; FloatMode: 240
; IeeeMode: 1
; LDSByteSize: 512 bytes/workgroup (compile time only)
; SGPRBlocks: 0
; VGPRBlocks: 0
; NumSGPRsForWavesPerEU: 15
; NumVGPRsForWavesPerEU: 14
; NamedBarCnt: 0
; Occupancy: 16
; WaveLimiterHint : 0
; COMPUTE_PGM_RSRC2:SCRATCH_EN: 0
; COMPUTE_PGM_RSRC2:USER_SGPR: 2
; COMPUTE_PGM_RSRC2:TRAP_HANDLER: 0
; COMPUTE_PGM_RSRC2:TGID_X_EN: 1
; COMPUTE_PGM_RSRC2:TGID_Y_EN: 0
; COMPUTE_PGM_RSRC2:TGID_Z_EN: 0
; COMPUTE_PGM_RSRC2:TIDIG_COMP_CNT: 0
	.section	.text._Z13bitPackKernelIhjEvPKhPKT_PT0_S4_PKm,"axG",@progbits,_Z13bitPackKernelIhjEvPKhPKT_PT0_S4_PKm,comdat
	.protected	_Z13bitPackKernelIhjEvPKhPKT_PT0_S4_PKm ; -- Begin function _Z13bitPackKernelIhjEvPKhPKT_PT0_S4_PKm
	.globl	_Z13bitPackKernelIhjEvPKhPKT_PT0_S4_PKm
	.p2align	8
	.type	_Z13bitPackKernelIhjEvPKhPKT_PT0_S4_PKm,@function
_Z13bitPackKernelIhjEvPKhPKT_PT0_S4_PKm: ; @_Z13bitPackKernelIhjEvPKhPKT_PT0_S4_PKm
; %bb.0:
	s_load_b64 s[2:3], s[0:1], 0x20
	s_mov_b32 s13, 0
	s_wait_kmcnt 0x0
	s_load_b64 s[2:3], s[2:3], 0x0
	s_wait_kmcnt 0x0
	s_and_b64 s[4:5], s[2:3], 0xff
	s_lshr_b64 s[6:7], s[2:3], 8
	s_cmp_lg_u64 s[4:5], 0
	s_cselect_b32 s4, -1, 0
	s_delay_alu instid0(SALU_CYCLE_1)
	s_cmp_lg_u32 s4, 0
	s_add_co_ci_u32 s20, s6, 0
	s_bfe_u32 s4, ttmp6, 0x4000c
	s_and_b32 s5, ttmp6, 15
	s_add_co_i32 s4, s4, 1
	s_getreg_b32 s6, hwreg(HW_REG_IB_STS2, 6, 4)
	s_mul_i32 s4, ttmp9, s4
	s_delay_alu instid0(SALU_CYCLE_1) | instskip(SKIP_2) | instid1(SALU_CYCLE_1)
	s_add_co_i32 s5, s5, s4
	s_cmp_eq_u32 s6, 0
	s_cselect_b32 s21, ttmp9, s5
	s_cmp_ge_i32 s21, s20
	s_cbranch_scc1 .LBB5_37
; %bb.1:
	s_load_b256 s[4:11], s[0:1], 0x0
	v_mov_b32_e32 v2, 0
	s_wait_kmcnt 0x0
	s_clause 0x1
	global_load_u8 v1, v2, s[4:5]
	global_load_u8 v22, v2, s[6:7]
	s_load_b32 s1, s[0:1], 0x28
	s_bfe_i64 s[6:7], s[2:3], 0x200000
	v_lshlrev_b32_e32 v5, 5, v0
	s_delay_alu instid0(VALU_DEP_1) | instskip(NEXT) | instid1(VALU_DEP_1)
	v_lshl_add_u32 v23, s21, 13, v5
	v_sub_nc_u32_e32 v24, 0, v23
	s_wait_kmcnt 0x0
	s_lshl_b32 s22, s1, 13
	s_wait_loadcnt 0x1
	v_readfirstlane_b32 s12, v1
	v_and_b32_e32 v25, 0xff, v1
	s_and_b64 s[4:5], s[12:13], 0xff
	s_delay_alu instid0(SALU_CYCLE_1) | instskip(SKIP_2) | instid1(VALU_DEP_1)
	v_cvt_f32_ubyte0_e32 v3, s4
	s_sub_nc_u64 s[14:15], 0, s[4:5]
	s_sub_co_i32 s23, 0, s4
	v_fmac_f32_e64 v3, 0x4f800000, 0
	s_delay_alu instid0(VALU_DEP_1) | instskip(SKIP_1) | instid1(TRANS32_DEP_1)
	v_rcp_f32_e32 v3, v3
	v_nop
	v_mul_f32_e32 v3, 0x5f7ffffc, v3
	s_delay_alu instid0(VALU_DEP_1) | instskip(NEXT) | instid1(VALU_DEP_1)
	v_mul_f32_e32 v4, 0x2f800000, v3
	v_trunc_f32_e32 v6, v4
	s_delay_alu instid0(VALU_DEP_1) | instskip(SKIP_1) | instid1(VALU_DEP_2)
	v_fmac_f32_e32 v3, 0xcf800000, v6
	v_cvt_u32_f32_e32 v5, v6
	v_cvt_u32_f32_e32 v4, v3
	s_branch .LBB5_3
.LBB5_2:                                ;   in Loop: Header=BB5_3 Depth=1
	s_wait_xcnt 0x0
	s_or_b32 exec_lo, exec_lo, s0
	v_subrev_nc_u32_e32 v24, s22, v24
	v_add_nc_u32_e32 v23, s22, v23
	s_add_co_i32 s21, s1, s21
	s_delay_alu instid0(SALU_CYCLE_1)
	s_cmp_ge_i32 s21, s20
	s_cbranch_scc1 .LBB5_37
.LBB5_3:                                ; =>This Loop Header: Depth=1
                                        ;     Child Loop BB5_19 Depth 2
                                        ;       Child Loop BB5_24 Depth 3
                                        ;       Child Loop BB5_28 Depth 3
	s_lshl_b32 s16, s21, 8
                                        ; implicit-def: $vgpr10_vgpr11
	s_mov_b32 s0, exec_lo
	v_add_nc_u32_e32 v6, s16, v0
	s_delay_alu instid0(VALU_DEP_1) | instskip(NEXT) | instid1(VALU_DEP_1)
	v_ashrrev_i32_e32 v7, 31, v6
	v_lshlrev_b64_e32 v[8:9], 5, v[6:7]
	s_delay_alu instid0(VALU_DEP_1) | instskip(NEXT) | instid1(VALU_DEP_1)
	v_mov_b32_e32 v3, v9
	v_cmpx_ne_u64_e32 0, v[2:3]
	s_xor_b32 s12, exec_lo, s0
	s_cbranch_execz .LBB5_5
; %bb.4:                                ;   in Loop: Header=BB5_3 Depth=1
	v_mul_u64_e32 v[10:11], s[14:15], v[4:5]
	v_dual_mov_b32 v15, v2 :: v_dual_mov_b32 v17, v2
	s_delay_alu instid0(VALU_DEP_2) | instskip(SKIP_1) | instid1(VALU_DEP_4)
	v_mul_hi_u32 v13, v4, v11
	v_mul_lo_u32 v12, v4, v11
	v_mul_hi_u32 v14, v4, v10
	v_mul_lo_u32 v1, v5, v10
	v_mul_hi_u32 v3, v5, v10
	v_mul_hi_u32 v16, v5, v11
	v_mul_lo_u32 v10, v5, v11
	v_add_nc_u64_e32 v[12:13], v[14:15], v[12:13]
	s_delay_alu instid0(VALU_DEP_1) | instskip(NEXT) | instid1(VALU_DEP_2)
	v_add_co_u32 v1, vcc_lo, v12, v1
	v_add_co_ci_u32_e32 v14, vcc_lo, v13, v3, vcc_lo
	v_add_co_ci_u32_e32 v11, vcc_lo, 0, v16, vcc_lo
	s_delay_alu instid0(VALU_DEP_1) | instskip(NEXT) | instid1(VALU_DEP_1)
	v_add_nc_u64_e32 v[10:11], v[14:15], v[10:11]
	v_add_co_u32 v10, vcc_lo, v4, v10
	s_delay_alu instid0(VALU_DEP_1) | instskip(NEXT) | instid1(VALU_DEP_1)
	v_add_co_ci_u32_e64 v11, null, v5, v11, vcc_lo
	v_mul_u64_e32 v[12:13], s[14:15], v[10:11]
	s_delay_alu instid0(VALU_DEP_1) | instskip(SKIP_1) | instid1(VALU_DEP_3)
	v_mul_hi_u32 v15, v10, v13
	v_mul_lo_u32 v14, v10, v13
	v_mul_hi_u32 v16, v10, v12
	v_mul_lo_u32 v1, v11, v12
	v_mul_hi_u32 v3, v11, v12
	v_mul_hi_u32 v18, v11, v13
	v_mul_lo_u32 v12, v11, v13
	v_add_nc_u64_e32 v[14:15], v[16:17], v[14:15]
	s_delay_alu instid0(VALU_DEP_1) | instskip(NEXT) | instid1(VALU_DEP_2)
	v_add_co_u32 v1, vcc_lo, v14, v1
	v_add_co_ci_u32_e32 v16, vcc_lo, v15, v3, vcc_lo
	v_add_co_ci_u32_e32 v13, vcc_lo, 0, v18, vcc_lo
	v_mov_b32_e32 v15, v2
	s_delay_alu instid0(VALU_DEP_2) | instskip(SKIP_1) | instid1(VALU_DEP_2)
	v_add_nc_u64_e32 v[12:13], v[16:17], v[12:13]
	v_mov_b32_e32 v16, v8
	v_add_co_u32 v10, vcc_lo, v10, v12
	s_delay_alu instid0(VALU_DEP_1) | instskip(SKIP_2) | instid1(VALU_DEP_3)
	v_add_co_ci_u32_e64 v14, null, v11, v13, vcc_lo
	v_dual_mov_b32 v12, v9 :: v_dual_mov_b32 v13, v2
	v_mov_b32_e32 v11, v2
	v_mul_u64_e32 v[16:17], v[16:17], v[14:15]
	s_delay_alu instid0(VALU_DEP_2) | instskip(SKIP_2) | instid1(VALU_DEP_1)
	v_mul_u64_e32 v[18:19], v[12:13], v[10:11]
	v_mul_u64_e32 v[12:13], v[12:13], v[14:15]
	v_mul_hi_u32 v10, v8, v10
	v_add_nc_u64_e32 v[10:11], v[10:11], v[16:17]
	s_delay_alu instid0(VALU_DEP_1) | instskip(NEXT) | instid1(VALU_DEP_2)
	v_add_co_u32 v1, vcc_lo, v10, v18
	v_add_co_ci_u32_e32 v14, vcc_lo, v11, v19, vcc_lo
	v_add_co_ci_u32_e32 v13, vcc_lo, 0, v13, vcc_lo
	s_delay_alu instid0(VALU_DEP_1) | instskip(NEXT) | instid1(VALU_DEP_1)
	v_add_nc_u64_e32 v[10:11], v[14:15], v[12:13]
	v_mul_u64_e32 v[12:13], s[4:5], v[10:11]
	s_delay_alu instid0(VALU_DEP_1) | instskip(NEXT) | instid1(VALU_DEP_1)
	v_sub_co_u32 v1, vcc_lo, v8, v12
	v_sub_co_ci_u32_e64 v3, null, v9, v13, vcc_lo
	s_delay_alu instid0(VALU_DEP_2) | instskip(NEXT) | instid1(VALU_DEP_1)
	v_sub_co_u32 v12, vcc_lo, v1, s4
	v_subrev_co_ci_u32_e64 v14, null, 0, v3, vcc_lo
	v_cmp_eq_u32_e64 s0, 0, v3
	s_delay_alu instid0(VALU_DEP_3) | instskip(SKIP_3) | instid1(VALU_DEP_2)
	v_cmp_le_u32_e32 vcc_lo, s4, v12
	v_add_nc_u64_e32 v[12:13], 2, v[10:11]
	v_cndmask_b32_e64 v15, 0, -1, vcc_lo
	v_cmp_eq_u32_e32 vcc_lo, 0, v14
	v_cndmask_b32_e32 v16, -1, v15, vcc_lo
	v_cmp_le_u32_e32 vcc_lo, s4, v1
	v_add_nc_u64_e32 v[14:15], 1, v[10:11]
	v_cndmask_b32_e64 v1, 0, -1, vcc_lo
	s_delay_alu instid0(VALU_DEP_4) | instskip(NEXT) | instid1(VALU_DEP_2)
	v_cmp_ne_u32_e32 vcc_lo, 0, v16
	v_dual_cndmask_b32 v1, -1, v1, s0 :: v_dual_cndmask_b32 v12, v14, v12, vcc_lo
	s_delay_alu instid0(VALU_DEP_4) | instskip(NEXT) | instid1(VALU_DEP_2)
	v_cndmask_b32_e32 v3, v15, v13, vcc_lo
	v_cmp_ne_u32_e32 vcc_lo, 0, v1
	s_delay_alu instid0(VALU_DEP_2)
	v_dual_cndmask_b32 v10, v10, v12 :: v_dual_cndmask_b32 v11, v11, v3
.LBB5_5:                                ;   in Loop: Header=BB5_3 Depth=1
	s_or_saveexec_b32 s0, s12
	v_cvt_f32_u32_e32 v1, s4
	s_xor_b32 exec_lo, exec_lo, s0
	s_cbranch_execz .LBB5_7
; %bb.6:                                ;   in Loop: Header=BB5_3 Depth=1
	s_delay_alu instid0(VALU_DEP_1) | instskip(SKIP_1) | instid1(TRANS32_DEP_1)
	v_rcp_iflag_f32_e32 v3, v1
	v_nop
	v_mul_f32_e32 v3, 0x4f7ffffe, v3
	s_delay_alu instid0(VALU_DEP_1) | instskip(NEXT) | instid1(VALU_DEP_1)
	v_cvt_u32_f32_e32 v3, v3
	v_mul_lo_u32 v10, s23, v3
	s_delay_alu instid0(VALU_DEP_1) | instskip(NEXT) | instid1(VALU_DEP_1)
	v_mul_hi_u32 v10, v3, v10
	v_add_nc_u32_e32 v3, v3, v10
	s_delay_alu instid0(VALU_DEP_1) | instskip(NEXT) | instid1(VALU_DEP_1)
	v_mul_hi_u32 v3, v8, v3
	v_mul_lo_u32 v10, v3, s4
	s_delay_alu instid0(VALU_DEP_1) | instskip(NEXT) | instid1(VALU_DEP_1)
	v_dual_add_nc_u32 v11, 1, v3 :: v_dual_sub_nc_u32 v10, v8, v10
	v_subrev_nc_u32_e32 v12, s4, v10
	v_cmp_le_u32_e32 vcc_lo, s4, v10
	s_delay_alu instid0(VALU_DEP_2) | instskip(NEXT) | instid1(VALU_DEP_1)
	v_dual_cndmask_b32 v10, v10, v12 :: v_dual_cndmask_b32 v3, v3, v11
	v_cmp_le_u32_e32 vcc_lo, s4, v10
	s_delay_alu instid0(VALU_DEP_2) | instskip(NEXT) | instid1(VALU_DEP_1)
	v_add_nc_u32_e32 v11, 1, v3
	v_dual_cndmask_b32 v10, v3, v11 :: v_dual_mov_b32 v11, v2
.LBB5_7:                                ;   in Loop: Header=BB5_3 Depth=1
	s_or_b32 exec_lo, exec_lo, s0
	v_add_nc_u64_e32 v[12:13], 32, v[8:9]
                                        ; implicit-def: $vgpr14_vgpr15
	s_mov_b32 s0, exec_lo
	s_delay_alu instid0(VALU_DEP_1) | instskip(NEXT) | instid1(VALU_DEP_1)
	v_mov_b32_e32 v3, v13
	v_cmpx_ne_u64_e32 0, v[2:3]
	s_xor_b32 s12, exec_lo, s0
	s_cbranch_execz .LBB5_9
; %bb.8:                                ;   in Loop: Header=BB5_3 Depth=1
	v_mul_u64_e32 v[14:15], s[14:15], v[4:5]
	v_dual_mov_b32 v19, v2 :: v_dual_mov_b32 v21, v2
	s_delay_alu instid0(VALU_DEP_2) | instskip(SKIP_1) | instid1(VALU_DEP_4)
	v_mul_hi_u32 v17, v4, v15
	v_mul_lo_u32 v16, v4, v15
	v_mul_hi_u32 v18, v4, v14
	v_mul_lo_u32 v3, v5, v14
	v_mul_hi_u32 v9, v5, v14
	v_mul_hi_u32 v20, v5, v15
	v_mul_lo_u32 v14, v5, v15
	v_add_nc_u64_e32 v[16:17], v[18:19], v[16:17]
	s_delay_alu instid0(VALU_DEP_1) | instskip(NEXT) | instid1(VALU_DEP_2)
	v_add_co_u32 v3, vcc_lo, v16, v3
	v_add_co_ci_u32_e32 v18, vcc_lo, v17, v9, vcc_lo
	v_add_co_ci_u32_e32 v15, vcc_lo, 0, v20, vcc_lo
	s_delay_alu instid0(VALU_DEP_1) | instskip(NEXT) | instid1(VALU_DEP_1)
	v_add_nc_u64_e32 v[14:15], v[18:19], v[14:15]
	v_add_co_u32 v14, vcc_lo, v4, v14
	s_delay_alu instid0(VALU_DEP_1) | instskip(NEXT) | instid1(VALU_DEP_1)
	v_add_co_ci_u32_e64 v15, null, v5, v15, vcc_lo
	v_mul_u64_e32 v[16:17], s[14:15], v[14:15]
	s_delay_alu instid0(VALU_DEP_1) | instskip(SKIP_1) | instid1(VALU_DEP_3)
	v_mul_hi_u32 v19, v14, v17
	v_mul_lo_u32 v18, v14, v17
	v_mul_hi_u32 v20, v14, v16
	v_mul_lo_u32 v3, v15, v16
	v_mul_hi_u32 v9, v15, v16
	v_mul_hi_u32 v26, v15, v17
	v_mul_lo_u32 v16, v15, v17
	v_add_nc_u64_e32 v[18:19], v[20:21], v[18:19]
	s_delay_alu instid0(VALU_DEP_1) | instskip(NEXT) | instid1(VALU_DEP_2)
	v_add_co_u32 v3, vcc_lo, v18, v3
	v_add_co_ci_u32_e32 v20, vcc_lo, v19, v9, vcc_lo
	v_add_co_ci_u32_e32 v17, vcc_lo, 0, v26, vcc_lo
	v_mov_b32_e32 v19, v2
	s_delay_alu instid0(VALU_DEP_2) | instskip(SKIP_1) | instid1(VALU_DEP_2)
	v_add_nc_u64_e32 v[16:17], v[20:21], v[16:17]
	v_mov_b32_e32 v20, v12
	v_add_co_u32 v14, vcc_lo, v14, v16
	s_delay_alu instid0(VALU_DEP_1) | instskip(SKIP_2) | instid1(VALU_DEP_3)
	v_add_co_ci_u32_e64 v18, null, v15, v17, vcc_lo
	v_dual_mov_b32 v16, v13 :: v_dual_mov_b32 v17, v2
	v_mov_b32_e32 v15, v2
	v_mul_u64_e32 v[20:21], v[20:21], v[18:19]
	s_delay_alu instid0(VALU_DEP_2) | instskip(SKIP_2) | instid1(VALU_DEP_1)
	v_mul_u64_e32 v[26:27], v[16:17], v[14:15]
	v_mul_u64_e32 v[16:17], v[16:17], v[18:19]
	v_mul_hi_u32 v14, v12, v14
	v_add_nc_u64_e32 v[14:15], v[14:15], v[20:21]
	s_delay_alu instid0(VALU_DEP_1) | instskip(NEXT) | instid1(VALU_DEP_2)
	v_add_co_u32 v3, vcc_lo, v14, v26
	v_add_co_ci_u32_e32 v18, vcc_lo, v15, v27, vcc_lo
	v_add_co_ci_u32_e32 v17, vcc_lo, 0, v17, vcc_lo
	s_delay_alu instid0(VALU_DEP_1) | instskip(NEXT) | instid1(VALU_DEP_1)
	v_add_nc_u64_e32 v[14:15], v[18:19], v[16:17]
	v_mul_u64_e32 v[16:17], s[4:5], v[14:15]
	s_delay_alu instid0(VALU_DEP_1) | instskip(NEXT) | instid1(VALU_DEP_1)
	v_sub_co_u32 v3, vcc_lo, v12, v16
	v_sub_co_ci_u32_e64 v9, null, v13, v17, vcc_lo
	s_delay_alu instid0(VALU_DEP_2) | instskip(NEXT) | instid1(VALU_DEP_1)
	v_sub_co_u32 v16, vcc_lo, v3, s4
	v_subrev_co_ci_u32_e64 v18, null, 0, v9, vcc_lo
	v_cmp_eq_u32_e64 s0, 0, v9
	s_delay_alu instid0(VALU_DEP_3) | instskip(SKIP_3) | instid1(VALU_DEP_2)
	v_cmp_le_u32_e32 vcc_lo, s4, v16
	v_add_nc_u64_e32 v[16:17], 2, v[14:15]
	v_cndmask_b32_e64 v19, 0, -1, vcc_lo
	v_cmp_eq_u32_e32 vcc_lo, 0, v18
	v_cndmask_b32_e32 v20, -1, v19, vcc_lo
	v_cmp_le_u32_e32 vcc_lo, s4, v3
	v_add_nc_u64_e32 v[18:19], 1, v[14:15]
	v_cndmask_b32_e64 v3, 0, -1, vcc_lo
	s_delay_alu instid0(VALU_DEP_4) | instskip(NEXT) | instid1(VALU_DEP_2)
	v_cmp_ne_u32_e32 vcc_lo, 0, v20
	v_dual_cndmask_b32 v3, -1, v3, s0 :: v_dual_cndmask_b32 v9, v19, v17, vcc_lo
	s_delay_alu instid0(VALU_DEP_4) | instskip(NEXT) | instid1(VALU_DEP_2)
	v_cndmask_b32_e32 v16, v18, v16, vcc_lo
	v_cmp_ne_u32_e32 vcc_lo, 0, v3
	s_delay_alu instid0(VALU_DEP_2)
	v_dual_cndmask_b32 v15, v15, v9 :: v_dual_cndmask_b32 v14, v14, v16
.LBB5_9:                                ;   in Loop: Header=BB5_3 Depth=1
	s_and_not1_saveexec_b32 s0, s12
	s_cbranch_execz .LBB5_11
; %bb.10:                               ;   in Loop: Header=BB5_3 Depth=1
	v_rcp_iflag_f32_e32 v3, v1
	v_nop
	s_delay_alu instid0(TRANS32_DEP_1) | instskip(NEXT) | instid1(VALU_DEP_1)
	v_mul_f32_e32 v3, 0x4f7ffffe, v3
	v_cvt_u32_f32_e32 v3, v3
	s_delay_alu instid0(VALU_DEP_1) | instskip(NEXT) | instid1(VALU_DEP_1)
	v_mul_lo_u32 v9, s23, v3
	v_mul_hi_u32 v9, v3, v9
	s_delay_alu instid0(VALU_DEP_1) | instskip(NEXT) | instid1(VALU_DEP_1)
	v_add_nc_u32_e32 v3, v3, v9
	v_mul_hi_u32 v3, v12, v3
	s_delay_alu instid0(VALU_DEP_1) | instskip(NEXT) | instid1(VALU_DEP_1)
	v_mul_lo_u32 v9, v3, s4
	v_dual_add_nc_u32 v14, 1, v3 :: v_dual_sub_nc_u32 v9, v12, v9
	s_delay_alu instid0(VALU_DEP_1) | instskip(SKIP_1) | instid1(VALU_DEP_2)
	v_subrev_nc_u32_e32 v15, s4, v9
	v_cmp_le_u32_e32 vcc_lo, s4, v9
	v_dual_cndmask_b32 v9, v9, v15, vcc_lo :: v_dual_mov_b32 v15, v2
	s_delay_alu instid0(VALU_DEP_4) | instskip(NEXT) | instid1(VALU_DEP_2)
	v_cndmask_b32_e32 v3, v3, v14, vcc_lo
	v_cmp_le_u32_e32 vcc_lo, s4, v9
	s_delay_alu instid0(VALU_DEP_2) | instskip(NEXT) | instid1(VALU_DEP_1)
	v_add_nc_u32_e32 v14, 1, v3
	v_cndmask_b32_e32 v14, v3, v14, vcc_lo
.LBB5_11:                               ;   in Loop: Header=BB5_3 Depth=1
	s_or_b32 exec_lo, exec_lo, s0
	s_ashr_i32 s17, s16, 31
	s_delay_alu instid0(SALU_CYCLE_1) | instskip(NEXT) | instid1(SALU_CYCLE_1)
	s_lshl_b64 s[18:19], s[16:17], 5
	s_and_b64 s[24:25], s[18:19], 0xffffffff00000000
	s_delay_alu instid0(SALU_CYCLE_1)
	s_cmp_lg_u64 s[24:25], 0
	s_cbranch_scc0 .LBB5_35
; %bb.12:                               ;   in Loop: Header=BB5_3 Depth=1
	v_mul_u64_e32 v[16:17], s[14:15], v[4:5]
	v_dual_mov_b32 v21, v2 :: v_dual_mov_b32 v27, v2
	s_delay_alu instid0(VALU_DEP_2) | instskip(SKIP_1) | instid1(VALU_DEP_4)
	v_mul_hi_u32 v19, v4, v17
	v_mul_lo_u32 v18, v4, v17
	v_mul_hi_u32 v20, v4, v16
	v_mul_lo_u32 v3, v5, v16
	v_mul_hi_u32 v9, v5, v16
	v_mul_hi_u32 v26, v5, v17
	v_mul_lo_u32 v16, v5, v17
	v_add_nc_u64_e32 v[18:19], v[20:21], v[18:19]
	s_delay_alu instid0(VALU_DEP_1) | instskip(NEXT) | instid1(VALU_DEP_2)
	v_add_co_u32 v3, vcc_lo, v18, v3
	v_add_co_ci_u32_e32 v20, vcc_lo, v19, v9, vcc_lo
	v_add_co_ci_u32_e32 v17, vcc_lo, 0, v26, vcc_lo
	s_delay_alu instid0(VALU_DEP_1) | instskip(NEXT) | instid1(VALU_DEP_1)
	v_add_nc_u64_e32 v[16:17], v[20:21], v[16:17]
	v_add_co_u32 v16, vcc_lo, v4, v16
	s_delay_alu instid0(VALU_DEP_1) | instskip(NEXT) | instid1(VALU_DEP_1)
	v_add_co_ci_u32_e64 v17, null, v5, v17, vcc_lo
	v_mul_u64_e32 v[18:19], s[14:15], v[16:17]
	s_delay_alu instid0(VALU_DEP_1) | instskip(SKIP_1) | instid1(VALU_DEP_3)
	v_mul_hi_u32 v21, v16, v19
	v_mul_lo_u32 v20, v16, v19
	v_mul_hi_u32 v26, v16, v18
	v_mul_lo_u32 v3, v17, v18
	v_mul_hi_u32 v9, v17, v18
	v_mul_hi_u32 v28, v17, v19
	v_mul_lo_u32 v18, v17, v19
	v_add_nc_u64_e32 v[20:21], v[26:27], v[20:21]
	s_delay_alu instid0(VALU_DEP_1) | instskip(NEXT) | instid1(VALU_DEP_2)
	v_add_co_u32 v3, vcc_lo, v20, v3
	v_add_co_ci_u32_e32 v26, vcc_lo, v21, v9, vcc_lo
	v_add_co_ci_u32_e32 v19, vcc_lo, 0, v28, vcc_lo
	s_delay_alu instid0(VALU_DEP_1) | instskip(NEXT) | instid1(VALU_DEP_1)
	v_add_nc_u64_e32 v[18:19], v[26:27], v[18:19]
	v_add_co_u32 v3, vcc_lo, v16, v18
	s_delay_alu instid0(VALU_DEP_1) | instskip(SKIP_1) | instid1(VALU_DEP_3)
	v_add_co_ci_u32_e64 v9, null, v17, v19, vcc_lo
	v_mov_b32_e32 v19, v2
	v_mul_hi_u32 v18, s18, v3
	v_mul_lo_u32 v21, s19, v3
	s_delay_alu instid0(VALU_DEP_4) | instskip(SKIP_4) | instid1(VALU_DEP_4)
	v_mul_hi_u32 v17, s18, v9
	v_mul_lo_u32 v16, s18, v9
	v_mul_hi_u32 v3, s19, v3
	v_mul_hi_u32 v26, s19, v9
	v_mul_lo_u32 v20, s19, v9
	v_add_nc_u64_e32 v[16:17], v[18:19], v[16:17]
	s_delay_alu instid0(VALU_DEP_1) | instskip(NEXT) | instid1(VALU_DEP_2)
	v_add_co_u32 v9, vcc_lo, v16, v21
	v_add_co_ci_u32_e32 v18, vcc_lo, v17, v3, vcc_lo
	v_add_co_ci_u32_e32 v21, vcc_lo, 0, v26, vcc_lo
	s_delay_alu instid0(VALU_DEP_1) | instskip(NEXT) | instid1(VALU_DEP_1)
	v_add_nc_u64_e32 v[16:17], v[18:19], v[20:21]
	v_mul_u64_e32 v[18:19], s[4:5], v[16:17]
	s_delay_alu instid0(VALU_DEP_1) | instskip(NEXT) | instid1(VALU_DEP_1)
	v_sub_co_u32 v3, vcc_lo, s18, v18
	v_sub_co_ci_u32_e64 v9, null, s19, v19, vcc_lo
	s_delay_alu instid0(VALU_DEP_2) | instskip(NEXT) | instid1(VALU_DEP_1)
	v_sub_co_u32 v18, vcc_lo, v3, s4
	v_subrev_co_ci_u32_e64 v20, null, 0, v9, vcc_lo
	v_cmp_eq_u32_e64 s0, 0, v9
	s_delay_alu instid0(VALU_DEP_3) | instskip(SKIP_3) | instid1(VALU_DEP_2)
	v_cmp_le_u32_e32 vcc_lo, s4, v18
	v_add_nc_u64_e32 v[18:19], 1, v[16:17]
	v_cndmask_b32_e64 v21, 0, -1, vcc_lo
	v_cmp_eq_u32_e32 vcc_lo, 0, v20
	v_cndmask_b32_e32 v26, -1, v21, vcc_lo
	v_cmp_le_u32_e32 vcc_lo, s4, v3
	v_add_nc_u64_e32 v[20:21], 2, v[16:17]
	v_cndmask_b32_e64 v3, 0, -1, vcc_lo
	s_delay_alu instid0(VALU_DEP_4) | instskip(NEXT) | instid1(VALU_DEP_2)
	v_cmp_ne_u32_e32 vcc_lo, 0, v26
	v_dual_cndmask_b32 v3, -1, v3, s0 :: v_dual_cndmask_b32 v9, v18, v20, vcc_lo
	s_delay_alu instid0(VALU_DEP_4) | instskip(NEXT) | instid1(VALU_DEP_2)
	v_cndmask_b32_e32 v18, v19, v21, vcc_lo
	v_cmp_ne_u32_e32 vcc_lo, 0, v3
	s_delay_alu instid0(VALU_DEP_2)
	v_dual_cndmask_b32 v17, v17, v18 :: v_dual_cndmask_b32 v16, v16, v9
	s_cbranch_execnz .LBB5_14
.LBB5_13:                               ;   in Loop: Header=BB5_3 Depth=1
	v_rcp_iflag_f32_e32 v3, v1
	v_nop
	s_delay_alu instid0(TRANS32_DEP_1) | instskip(NEXT) | instid1(VALU_DEP_1)
	v_mul_f32_e32 v3, 0x4f7ffffe, v3
	v_cvt_u32_f32_e32 v3, v3
	s_delay_alu instid0(VALU_DEP_1) | instskip(SKIP_1) | instid1(SALU_CYCLE_1)
	v_readfirstlane_b32 s0, v3
	s_mul_i32 s12, s23, s0
	s_mul_hi_u32 s12, s0, s12
	s_delay_alu instid0(SALU_CYCLE_1) | instskip(NEXT) | instid1(SALU_CYCLE_1)
	s_add_co_i32 s0, s0, s12
	s_mul_hi_u32 s0, s18, s0
	s_delay_alu instid0(SALU_CYCLE_1) | instskip(SKIP_2) | instid1(SALU_CYCLE_1)
	s_mul_i32 s12, s0, s4
	s_add_co_i32 s17, s0, 1
	s_sub_co_i32 s12, s18, s12
	s_sub_co_i32 s18, s12, s4
	s_cmp_ge_u32 s12, s4
	s_cselect_b32 s0, s17, s0
	s_cselect_b32 s12, s18, s12
	s_add_co_i32 s17, s0, 1
	s_cmp_ge_u32 s12, s4
	s_cselect_b32 s12, s17, s0
	s_delay_alu instid0(SALU_CYCLE_1)
	v_mov_b64_e32 v[16:17], s[12:13]
.LBB5_14:                               ;   in Loop: Header=BB5_3 Depth=1
	s_addk_co_i32 s16, 0x100
	s_delay_alu instid0(SALU_CYCLE_1) | instskip(NEXT) | instid1(SALU_CYCLE_1)
	s_ashr_i32 s17, s16, 31
	s_lshl_b64 s[16:17], s[16:17], 5
	s_delay_alu instid0(SALU_CYCLE_1) | instskip(NEXT) | instid1(SALU_CYCLE_1)
	s_and_b64 s[18:19], s[16:17], 0xffffffff00000000
	s_cmp_lg_u64 s[18:19], 0
	s_cbranch_scc0 .LBB5_36
; %bb.15:                               ;   in Loop: Header=BB5_3 Depth=1
	v_mul_u64_e32 v[18:19], s[14:15], v[4:5]
	v_dual_mov_b32 v27, v2 :: v_dual_mov_b32 v29, v2
	s_delay_alu instid0(VALU_DEP_2) | instskip(SKIP_1) | instid1(VALU_DEP_4)
	v_mul_hi_u32 v21, v4, v19
	v_mul_lo_u32 v20, v4, v19
	v_mul_hi_u32 v26, v4, v18
	v_mul_lo_u32 v3, v5, v18
	v_mul_hi_u32 v9, v5, v18
	v_mul_hi_u32 v28, v5, v19
	v_mul_lo_u32 v18, v5, v19
	v_add_nc_u64_e32 v[20:21], v[26:27], v[20:21]
	s_delay_alu instid0(VALU_DEP_1) | instskip(NEXT) | instid1(VALU_DEP_2)
	v_add_co_u32 v3, vcc_lo, v20, v3
	v_add_co_ci_u32_e32 v26, vcc_lo, v21, v9, vcc_lo
	v_add_co_ci_u32_e32 v19, vcc_lo, 0, v28, vcc_lo
	s_delay_alu instid0(VALU_DEP_1) | instskip(NEXT) | instid1(VALU_DEP_1)
	v_add_nc_u64_e32 v[18:19], v[26:27], v[18:19]
	v_add_co_u32 v18, vcc_lo, v4, v18
	s_delay_alu instid0(VALU_DEP_1) | instskip(NEXT) | instid1(VALU_DEP_1)
	v_add_co_ci_u32_e64 v19, null, v5, v19, vcc_lo
	v_mul_u64_e32 v[20:21], s[14:15], v[18:19]
	s_delay_alu instid0(VALU_DEP_1) | instskip(SKIP_1) | instid1(VALU_DEP_3)
	v_mul_hi_u32 v27, v18, v21
	v_mul_lo_u32 v26, v18, v21
	v_mul_hi_u32 v28, v18, v20
	v_mul_lo_u32 v3, v19, v20
	v_mul_hi_u32 v9, v19, v20
	v_mul_hi_u32 v30, v19, v21
	v_mul_lo_u32 v20, v19, v21
	v_add_nc_u64_e32 v[26:27], v[28:29], v[26:27]
	s_delay_alu instid0(VALU_DEP_1) | instskip(NEXT) | instid1(VALU_DEP_2)
	v_add_co_u32 v3, vcc_lo, v26, v3
	v_add_co_ci_u32_e32 v28, vcc_lo, v27, v9, vcc_lo
	v_add_co_ci_u32_e32 v21, vcc_lo, 0, v30, vcc_lo
	s_delay_alu instid0(VALU_DEP_1) | instskip(NEXT) | instid1(VALU_DEP_1)
	v_add_nc_u64_e32 v[20:21], v[28:29], v[20:21]
	v_add_co_u32 v3, vcc_lo, v18, v20
	s_delay_alu instid0(VALU_DEP_1) | instskip(SKIP_1) | instid1(VALU_DEP_3)
	v_add_co_ci_u32_e64 v9, null, v19, v21, vcc_lo
	v_mov_b32_e32 v21, v2
	v_mul_hi_u32 v20, s16, v3
	v_mul_lo_u32 v27, s17, v3
	s_delay_alu instid0(VALU_DEP_4) | instskip(SKIP_4) | instid1(VALU_DEP_4)
	v_mul_hi_u32 v19, s16, v9
	v_mul_lo_u32 v18, s16, v9
	v_mul_hi_u32 v3, s17, v3
	v_mul_hi_u32 v28, s17, v9
	v_mul_lo_u32 v26, s17, v9
	v_add_nc_u64_e32 v[18:19], v[20:21], v[18:19]
	s_delay_alu instid0(VALU_DEP_1) | instskip(NEXT) | instid1(VALU_DEP_2)
	v_add_co_u32 v9, vcc_lo, v18, v27
	v_add_co_ci_u32_e32 v20, vcc_lo, v19, v3, vcc_lo
	v_add_co_ci_u32_e32 v27, vcc_lo, 0, v28, vcc_lo
	s_delay_alu instid0(VALU_DEP_1) | instskip(NEXT) | instid1(VALU_DEP_1)
	v_add_nc_u64_e32 v[18:19], v[20:21], v[26:27]
	v_mul_u64_e32 v[20:21], s[4:5], v[18:19]
	s_delay_alu instid0(VALU_DEP_1) | instskip(NEXT) | instid1(VALU_DEP_1)
	v_sub_co_u32 v3, vcc_lo, s16, v20
	v_sub_co_ci_u32_e64 v9, null, s17, v21, vcc_lo
	s_delay_alu instid0(VALU_DEP_2) | instskip(NEXT) | instid1(VALU_DEP_1)
	v_sub_co_u32 v20, vcc_lo, v3, s4
	v_subrev_co_ci_u32_e64 v26, null, 0, v9, vcc_lo
	v_cmp_eq_u32_e64 s0, 0, v9
	s_delay_alu instid0(VALU_DEP_3) | instskip(SKIP_3) | instid1(VALU_DEP_2)
	v_cmp_le_u32_e32 vcc_lo, s4, v20
	v_add_nc_u64_e32 v[20:21], 1, v[18:19]
	v_cndmask_b32_e64 v27, 0, -1, vcc_lo
	v_cmp_eq_u32_e32 vcc_lo, 0, v26
	v_cndmask_b32_e32 v28, -1, v27, vcc_lo
	v_cmp_le_u32_e32 vcc_lo, s4, v3
	v_add_nc_u64_e32 v[26:27], 2, v[18:19]
	v_cndmask_b32_e64 v3, 0, -1, vcc_lo
	s_delay_alu instid0(VALU_DEP_4) | instskip(NEXT) | instid1(VALU_DEP_2)
	v_cmp_ne_u32_e32 vcc_lo, 0, v28
	v_dual_cndmask_b32 v3, -1, v3, s0 :: v_dual_cndmask_b32 v9, v20, v26, vcc_lo
	s_delay_alu instid0(VALU_DEP_4) | instskip(NEXT) | instid1(VALU_DEP_2)
	v_cndmask_b32_e32 v20, v21, v27, vcc_lo
	v_cmp_ne_u32_e32 vcc_lo, 0, v3
	s_delay_alu instid0(VALU_DEP_2)
	v_dual_cndmask_b32 v18, v18, v9 :: v_dual_cndmask_b32 v19, v19, v20
	s_cbranch_execnz .LBB5_17
.LBB5_16:                               ;   in Loop: Header=BB5_3 Depth=1
	v_rcp_iflag_f32_e32 v1, v1
	v_nop
	s_delay_alu instid0(TRANS32_DEP_1) | instskip(NEXT) | instid1(VALU_DEP_1)
	v_mul_f32_e32 v1, 0x4f7ffffe, v1
	v_cvt_u32_f32_e32 v1, v1
	s_delay_alu instid0(VALU_DEP_1) | instskip(SKIP_1) | instid1(SALU_CYCLE_1)
	v_readfirstlane_b32 s0, v1
	s_mul_i32 s12, s23, s0
	s_mul_hi_u32 s12, s0, s12
	s_delay_alu instid0(SALU_CYCLE_1) | instskip(NEXT) | instid1(SALU_CYCLE_1)
	s_add_co_i32 s0, s0, s12
	s_mul_hi_u32 s0, s16, s0
	s_delay_alu instid0(SALU_CYCLE_1) | instskip(SKIP_2) | instid1(SALU_CYCLE_1)
	s_mul_i32 s12, s0, s4
	s_add_co_i32 s18, s0, 1
	s_sub_co_i32 s12, s16, s12
	s_sub_co_i32 s19, s12, s4
	s_cmp_ge_u32 s12, s4
	s_cselect_b32 s0, s18, s0
	s_cselect_b32 s12, s19, s12
	s_add_co_i32 s18, s0, 1
	s_cmp_ge_u32 s12, s4
	s_cselect_b32 s12, s18, s0
	s_delay_alu instid0(SALU_CYCLE_1)
	v_mov_b64_e32 v[18:19], s[12:13]
.LBB5_17:                               ;   in Loop: Header=BB5_3 Depth=1
	s_delay_alu instid0(VALU_DEP_1)
	v_mul_u64_e32 v[20:21], s[4:5], v[18:19]
	v_mov_b32_e32 v27, s13
	v_and_b32_e32 v16, 0xffffff00, v16
	v_min_u64 v[10:11], s[6:7], v[10:11]
	v_mov_b32_e32 v3, 0
	v_sub_nc_u64_e32 v[20:21], s[16:17], v[20:21]
	s_delay_alu instid0(VALU_DEP_1) | instskip(SKIP_2) | instid1(VALU_DEP_1)
	v_cmp_ne_u64_e32 vcc_lo, 0, v[20:21]
	v_mov_b32_e32 v21, v2
	v_cndmask_b32_e64 v26, 0, 1, vcc_lo
	v_add_nc_u64_e32 v[18:19], v[18:19], v[26:27]
	s_delay_alu instid0(VALU_DEP_1) | instskip(NEXT) | instid1(VALU_DEP_1)
	v_and_b32_e32 v20, 0xff, v18
	v_cmp_eq_u64_e32 vcc_lo, 0, v[20:21]
	v_cndmask_b32_e64 v20, 0x100, 0, vcc_lo
	s_delay_alu instid0(VALU_DEP_1) | instskip(SKIP_1) | instid1(VALU_DEP_2)
	v_add_nc_u64_e32 v[20:21], v[20:21], v[18:19]
	v_min_u64 v[18:19], s[6:7], v[16:17]
	v_and_b32_e32 v20, 0xffffff00, v20
	s_delay_alu instid0(VALU_DEP_1) | instskip(NEXT) | instid1(VALU_DEP_1)
	v_min_u64 v[16:17], s[6:7], v[20:21]
	v_cmp_ge_i32_e32 vcc_lo, v18, v16
	s_cbranch_vccnz .LBB5_33
; %bb.18:                               ;   in Loop: Header=BB5_3 Depth=1
	v_mul_u64_e32 v[20:21], s[4:5], v[14:15]
	v_dual_mov_b32 v3, 0 :: v_dual_mov_b32 v1, v8
	s_delay_alu instid0(VALU_DEP_2) | instskip(NEXT) | instid1(VALU_DEP_1)
	v_sub_nc_u64_e32 v[12:13], v[12:13], v[20:21]
	v_cmp_ne_u64_e32 vcc_lo, 0, v[12:13]
	v_mov_b32_e32 v13, s13
	v_cndmask_b32_e64 v12, 0, 1, vcc_lo
	s_delay_alu instid0(VALU_DEP_1) | instskip(NEXT) | instid1(VALU_DEP_1)
	v_add_nc_u64_e32 v[12:13], v[14:15], v[12:13]
	v_min_u64 v[12:13], s[6:7], v[12:13]
.LBB5_19:                               ;   Parent Loop BB5_3 Depth=1
                                        ; =>  This Loop Header: Depth=2
                                        ;       Child Loop BB5_24 Depth 3
                                        ;       Child Loop BB5_28 Depth 3
	s_delay_alu instid0(VALU_DEP_1)
	v_add_nc_u32_e32 v14, v18, v0
	s_mov_b32 s0, exec_lo
	s_wait_loadcnt 0x0
	s_barrier_signal -1
	s_barrier_wait -1
	v_ashrrev_i32_e32 v15, 31, v14
	s_delay_alu instid0(VALU_DEP_1)
	v_cmpx_gt_u64_e64 s[2:3], v[14:15]
	s_cbranch_execz .LBB5_21
; %bb.20:                               ;   in Loop: Header=BB5_19 Depth=2
	v_add_nc_u64_e32 v[14:15], s[10:11], v[14:15]
	global_load_u8 v9, v[14:15], off
	s_wait_loadcnt 0x0
	v_sub_nc_u16 v9, v9, v22
	ds_store_b8 v0, v9
.LBB5_21:                               ;   in Loop: Header=BB5_19 Depth=2
	s_wait_xcnt 0x0
	s_or_b32 exec_lo, exec_lo, s0
	v_add_nc_u32_e32 v9, 0x100, v18
	v_max_i32_e32 v14, v10, v18
	s_mov_b32 s0, exec_lo
	s_wait_dscnt 0x0
	s_barrier_signal -1
	v_min_i32_e32 v11, v12, v9
	s_barrier_wait -1
	s_delay_alu instid0(VALU_DEP_1)
	v_cmpx_gt_i32_e64 v11, v14
	s_xor_b32 s0, exec_lo, s0
	s_cbranch_execz .LBB5_31
; %bb.22:                               ;   in Loop: Header=BB5_19 Depth=2
	v_sub_nc_u32_e32 v13, v11, v14
	s_mov_b32 s16, -1
	s_mov_b32 s12, exec_lo
	s_delay_alu instid0(VALU_DEP_1)
	v_cmpx_lt_u32_e32 1, v13
	s_cbranch_execz .LBB5_26
; %bb.23:                               ;   in Loop: Header=BB5_19 Depth=2
	v_dual_add_nc_u32 v15, 1, v14 :: v_dual_bitop2_b32 v17, -2, v13 bitop3:0x40
	v_mov_b32_e32 v19, 0
	s_mov_b32 s16, 0
	s_mov_b32 s17, 0
	s_delay_alu instid0(VALU_DEP_2)
	v_mov_b32_e32 v26, v17
	v_mov_b64_e32 v[20:21], v[14:15]
.LBB5_24:                               ;   Parent Loop BB5_3 Depth=1
                                        ;     Parent Loop BB5_19 Depth=2
                                        ; =>    This Inner Loop Header: Depth=3
	s_delay_alu instid0(VALU_DEP_1) | instskip(NEXT) | instid1(VALU_DEP_2)
	v_mul_lo_u32 v27, v21, v25
	v_mul_lo_u32 v28, v20, v25
	v_add_nc_u32_e32 v15, s17, v14
	s_add_co_i32 s17, s17, 2
	v_add_nc_u32_e32 v21, 2, v21
	s_delay_alu instid0(VALU_DEP_4) | instskip(NEXT) | instid1(VALU_DEP_3)
	v_sub_nc_u32_e32 v27, v27, v1
	v_dual_sub_nc_u32 v15, v15, v18 :: v_dual_sub_nc_u32 v28, v28, v8
	s_delay_alu instid0(VALU_DEP_2)
	v_sub_nc_u32_e32 v29, 0, v27
	ds_load_u16 v15, v15
	v_sub_nc_u32_e32 v31, 0, v28
	v_cmp_lt_i32_e32 vcc_lo, 0, v28
	s_wait_dscnt 0x0
	v_lshrrev_b16 v30, 8, v15
	v_and_b32_e32 v15, 0xff, v15
	s_delay_alu instid0(VALU_DEP_2) | instskip(NEXT) | instid1(VALU_DEP_2)
	v_and_b32_e32 v30, 0xffff, v30
	v_dual_lshlrev_b32 v32, v28, v15 :: v_dual_lshrrev_b32 v15, v31, v15
	v_add_nc_u32_e32 v26, -2, v26
	s_delay_alu instid0(VALU_DEP_3) | instskip(NEXT) | instid1(VALU_DEP_3)
	v_dual_lshlrev_b32 v31, v27, v30 :: v_dual_lshrrev_b32 v29, v29, v30
	v_cndmask_b32_e32 v15, v15, v32, vcc_lo
	v_cmp_lt_i32_e32 vcc_lo, 0, v27
	s_delay_alu instid0(VALU_DEP_2) | instskip(NEXT) | instid1(VALU_DEP_4)
	v_dual_add_nc_u32 v20, 2, v20 :: v_dual_bitop2_b32 v3, v15, v3 bitop3:0x54
	v_cndmask_b32_e32 v27, v29, v31, vcc_lo
	v_cmp_eq_u32_e32 vcc_lo, 0, v26
	s_delay_alu instid0(VALU_DEP_2) | instskip(SKIP_1) | instid1(SALU_CYCLE_1)
	v_or_b32_e32 v19, v27, v19
	s_or_b32 s16, vcc_lo, s16
	s_and_not1_b32 exec_lo, exec_lo, s16
	s_cbranch_execnz .LBB5_24
; %bb.25:                               ;   in Loop: Header=BB5_19 Depth=2
	s_or_b32 exec_lo, exec_lo, s16
	v_cmp_ne_u32_e32 vcc_lo, v13, v17
	v_dual_add_nc_u32 v14, v14, v17 :: v_dual_bitop2_b32 v3, v3, v19 bitop3:0x54
	s_or_not1_b32 s16, vcc_lo, exec_lo
.LBB5_26:                               ;   in Loop: Header=BB5_19 Depth=2
	s_or_b32 exec_lo, exec_lo, s12
	s_and_saveexec_b32 s12, s16
	s_cbranch_execz .LBB5_30
; %bb.27:                               ;   in Loop: Header=BB5_19 Depth=2
	v_mul_lo_u32 v15, v25, v14
	s_mov_b32 s16, 0
	s_delay_alu instid0(VALU_DEP_1)
	v_dual_add_nc_u32 v13, v24, v15 :: v_dual_sub_nc_u32 v15, v23, v15
.LBB5_28:                               ;   Parent Loop BB5_3 Depth=1
                                        ;     Parent Loop BB5_19 Depth=2
                                        ; =>    This Inner Loop Header: Depth=3
	v_sub_nc_u32_e32 v17, v14, v18
	s_delay_alu instid0(VALU_DEP_2) | instskip(SKIP_4) | instid1(VALU_DEP_2)
	v_cmp_lt_i32_e32 vcc_lo, 0, v13
	ds_load_u8 v17, v17
	s_wait_dscnt 0x0
	v_dual_lshlrev_b32 v19, v13, v17 :: v_dual_lshrrev_b32 v17, v15, v17
	v_dual_add_nc_u32 v14, 1, v14 :: v_dual_add_nc_u32 v13, v13, v25
	v_cndmask_b32_e32 v17, v17, v19, vcc_lo
	s_delay_alu instid0(VALU_DEP_2) | instskip(NEXT) | instid1(VALU_DEP_2)
	v_cmp_ge_i32_e32 vcc_lo, v14, v11
	v_dual_sub_nc_u32 v15, v15, v25 :: v_dual_bitop2_b32 v3, v17, v3 bitop3:0x54
	s_or_b32 s16, vcc_lo, s16
	s_delay_alu instid0(SALU_CYCLE_1)
	s_and_not1_b32 exec_lo, exec_lo, s16
	s_cbranch_execnz .LBB5_28
; %bb.29:                               ;   in Loop: Header=BB5_19 Depth=2
	s_or_b32 exec_lo, exec_lo, s16
.LBB5_30:                               ;   in Loop: Header=BB5_19 Depth=2
	s_delay_alu instid0(SALU_CYCLE_1)
	s_or_b32 exec_lo, exec_lo, s12
.LBB5_31:                               ;   in Loop: Header=BB5_19 Depth=2
	s_delay_alu instid0(SALU_CYCLE_1)
	s_or_b32 exec_lo, exec_lo, s0
	v_cmp_lt_i32_e32 vcc_lo, v9, v16
	s_cbranch_vccz .LBB5_33
; %bb.32:                               ;   in Loop: Header=BB5_19 Depth=2
	v_mov_b32_e32 v18, v9
	s_branch .LBB5_19
.LBB5_33:                               ;   in Loop: Header=BB5_3 Depth=1
	v_ashrrev_i32_e32 v11, 31, v10
	s_mov_b32 s0, exec_lo
	s_delay_alu instid0(VALU_DEP_1)
	v_cmpx_gt_u64_e64 s[2:3], v[10:11]
	s_cbranch_execz .LBB5_2
; %bb.34:                               ;   in Loop: Header=BB5_3 Depth=1
	v_lshl_add_u64 v[6:7], v[6:7], 2, s[8:9]
	global_store_b32 v[6:7], v3, off
	s_branch .LBB5_2
.LBB5_35:                               ;   in Loop: Header=BB5_3 Depth=1
                                        ; implicit-def: $vgpr16_vgpr17
	s_branch .LBB5_13
.LBB5_36:                               ;   in Loop: Header=BB5_3 Depth=1
                                        ; implicit-def: $vgpr18_vgpr19
	s_branch .LBB5_16
.LBB5_37:
	s_endpgm
	.section	.rodata,"a",@progbits
	.p2align	6, 0x0
	.amdhsa_kernel _Z13bitPackKernelIhjEvPKhPKT_PT0_S4_PKm
		.amdhsa_group_segment_fixed_size 256
		.amdhsa_private_segment_fixed_size 0
		.amdhsa_kernarg_size 296
		.amdhsa_user_sgpr_count 2
		.amdhsa_user_sgpr_dispatch_ptr 0
		.amdhsa_user_sgpr_queue_ptr 0
		.amdhsa_user_sgpr_kernarg_segment_ptr 1
		.amdhsa_user_sgpr_dispatch_id 0
		.amdhsa_user_sgpr_kernarg_preload_length 0
		.amdhsa_user_sgpr_kernarg_preload_offset 0
		.amdhsa_user_sgpr_private_segment_size 0
		.amdhsa_wavefront_size32 1
		.amdhsa_uses_dynamic_stack 0
		.amdhsa_enable_private_segment 0
		.amdhsa_system_sgpr_workgroup_id_x 1
		.amdhsa_system_sgpr_workgroup_id_y 0
		.amdhsa_system_sgpr_workgroup_id_z 0
		.amdhsa_system_sgpr_workgroup_info 0
		.amdhsa_system_vgpr_workitem_id 0
		.amdhsa_next_free_vgpr 33
		.amdhsa_next_free_sgpr 26
		.amdhsa_named_barrier_count 0
		.amdhsa_reserve_vcc 1
		.amdhsa_float_round_mode_32 0
		.amdhsa_float_round_mode_16_64 0
		.amdhsa_float_denorm_mode_32 3
		.amdhsa_float_denorm_mode_16_64 3
		.amdhsa_fp16_overflow 0
		.amdhsa_memory_ordered 1
		.amdhsa_forward_progress 1
		.amdhsa_inst_pref_size 29
		.amdhsa_round_robin_scheduling 0
		.amdhsa_exception_fp_ieee_invalid_op 0
		.amdhsa_exception_fp_denorm_src 0
		.amdhsa_exception_fp_ieee_div_zero 0
		.amdhsa_exception_fp_ieee_overflow 0
		.amdhsa_exception_fp_ieee_underflow 0
		.amdhsa_exception_fp_ieee_inexact 0
		.amdhsa_exception_int_div_zero 0
	.end_amdhsa_kernel
	.section	.text._Z13bitPackKernelIhjEvPKhPKT_PT0_S4_PKm,"axG",@progbits,_Z13bitPackKernelIhjEvPKhPKT_PT0_S4_PKm,comdat
.Lfunc_end5:
	.size	_Z13bitPackKernelIhjEvPKhPKT_PT0_S4_PKm, .Lfunc_end5-_Z13bitPackKernelIhjEvPKhPKT_PT0_S4_PKm
                                        ; -- End function
	.set _Z13bitPackKernelIhjEvPKhPKT_PT0_S4_PKm.num_vgpr, 33
	.set _Z13bitPackKernelIhjEvPKhPKT_PT0_S4_PKm.num_agpr, 0
	.set _Z13bitPackKernelIhjEvPKhPKT_PT0_S4_PKm.numbered_sgpr, 26
	.set _Z13bitPackKernelIhjEvPKhPKT_PT0_S4_PKm.num_named_barrier, 0
	.set _Z13bitPackKernelIhjEvPKhPKT_PT0_S4_PKm.private_seg_size, 0
	.set _Z13bitPackKernelIhjEvPKhPKT_PT0_S4_PKm.uses_vcc, 1
	.set _Z13bitPackKernelIhjEvPKhPKT_PT0_S4_PKm.uses_flat_scratch, 0
	.set _Z13bitPackKernelIhjEvPKhPKT_PT0_S4_PKm.has_dyn_sized_stack, 0
	.set _Z13bitPackKernelIhjEvPKhPKT_PT0_S4_PKm.has_recursion, 0
	.set _Z13bitPackKernelIhjEvPKhPKT_PT0_S4_PKm.has_indirect_call, 0
	.section	.AMDGPU.csdata,"",@progbits
; Kernel info:
; codeLenInByte = 3704
; TotalNumSgprs: 28
; NumVgprs: 33
; ScratchSize: 0
; MemoryBound: 0
; FloatMode: 240
; IeeeMode: 1
; LDSByteSize: 256 bytes/workgroup (compile time only)
; SGPRBlocks: 0
; VGPRBlocks: 2
; NumSGPRsForWavesPerEU: 28
; NumVGPRsForWavesPerEU: 33
; NamedBarCnt: 0
; Occupancy: 16
; WaveLimiterHint : 0
; COMPUTE_PGM_RSRC2:SCRATCH_EN: 0
; COMPUTE_PGM_RSRC2:USER_SGPR: 2
; COMPUTE_PGM_RSRC2:TRAP_HANDLER: 0
; COMPUTE_PGM_RSRC2:TGID_X_EN: 1
; COMPUTE_PGM_RSRC2:TGID_Y_EN: 0
; COMPUTE_PGM_RSRC2:TGID_Z_EN: 0
; COMPUTE_PGM_RSRC2:TIDIG_COMP_CNT: 0
	.section	.text._Z23bitPackConfigScanKernelIssEvPT_S1_PKT0_PKm,"axG",@progbits,_Z23bitPackConfigScanKernelIssEvPT_S1_PKT0_PKm,comdat
	.protected	_Z23bitPackConfigScanKernelIssEvPT_S1_PKT0_PKm ; -- Begin function _Z23bitPackConfigScanKernelIssEvPT_S1_PKT0_PKm
	.globl	_Z23bitPackConfigScanKernelIssEvPT_S1_PKT0_PKm
	.p2align	8
	.type	_Z23bitPackConfigScanKernelIssEvPT_S1_PKT0_PKm,@function
_Z23bitPackConfigScanKernelIssEvPT_S1_PKT0_PKm: ; @_Z23bitPackConfigScanKernelIssEvPT_S1_PKT0_PKm
; %bb.0:
	s_load_b256 s[4:11], s[0:1], 0x0
	s_wait_kmcnt 0x0
	s_load_b64 s[2:3], s[10:11], 0x0
	s_wait_kmcnt 0x0
	s_and_b64 s[10:11], s[2:3], 0xff
	s_lshr_b64 s[12:13], s[2:3], 8
	s_cmp_lg_u64 s[10:11], 0
	s_cselect_b32 s3, -1, 0
	s_delay_alu instid0(SALU_CYCLE_1)
	s_cmp_lg_u32 s3, 0
	s_add_co_ci_u32 s10, s12, 0
	s_bfe_u32 s3, ttmp6, 0x4000c
	s_and_b32 s11, ttmp6, 15
	s_add_co_i32 s3, s3, 1
	s_getreg_b32 s12, hwreg(HW_REG_IB_STS2, 6, 4)
	s_mul_i32 s3, ttmp9, s3
	s_delay_alu instid0(SALU_CYCLE_1) | instskip(SKIP_2) | instid1(SALU_CYCLE_1)
	s_add_co_i32 s11, s11, s3
	s_cmp_eq_u32 s12, 0
	s_cselect_b32 s3, ttmp9, s11
	s_cmp_ge_u32 s3, s10
	s_cbranch_scc1 .LBB6_82
; %bb.1:
	s_cmp_lt_i32 s3, s10
	s_cbranch_scc1 .LBB6_83
; %bb.2:
	s_cbranch_execz .LBB6_84
; %bb.3:
	v_dual_mov_b32 v1, 0 :: v_dual_mov_b32 v2, 0
	s_mov_b32 s1, 0
.LBB6_4:
	v_lshlrev_b32_e32 v3, 1, v0
	v_cmp_lt_u32_e32 vcc_lo, 0x7f, v0
	ds_store_b16 v3, v1 offset:512
	ds_store_b16 v3, v2
	v_add_nc_u32_e32 v1, 0xffffff00, v3
	s_wait_dscnt 0x0
	s_barrier_signal -1
	s_barrier_wait -1
	s_and_saveexec_b32 s0, vcc_lo
	s_delay_alu instid0(SALU_CYCLE_1)
	s_xor_b32 s2, exec_lo, s0
	s_cbranch_execz .LBB6_8
; %bb.5:
	s_mov_b32 s8, exec_lo
	v_cmpx_gt_i32_e64 s1, v0
	s_cbranch_execz .LBB6_7
; %bb.6:
	ds_load_u16 v2, v1
	ds_load_u16 v4, v3
	s_wait_dscnt 0x0
	v_max_i16 v2, v2, v4
	ds_store_b16 v1, v2
.LBB6_7:
	s_or_b32 exec_lo, exec_lo, s8
.LBB6_8:
	s_or_saveexec_b32 s2, s2
	v_add_nc_u32_e32 v2, 0x200, v3
	s_xor_b32 exec_lo, exec_lo, s2
	s_cbranch_execz .LBB6_12
; %bb.9:
	v_or_b32_e32 v4, 0x80, v0
	s_mov_b32 s8, exec_lo
	s_delay_alu instid0(VALU_DEP_1)
	v_cmpx_gt_i32_e64 s1, v4
	s_cbranch_execz .LBB6_11
; %bb.10:
	ds_load_u16 v4, v2
	ds_load_u16 v5, v2 offset:256
	s_wait_dscnt 0x0
	v_min_i16 v4, v4, v5
	ds_store_b16 v2, v4
.LBB6_11:
	s_or_b32 exec_lo, exec_lo, s8
.LBB6_12:
	s_delay_alu instid0(SALU_CYCLE_1) | instskip(SKIP_4) | instid1(SALU_CYCLE_1)
	s_or_b32 exec_lo, exec_lo, s2
	s_wait_dscnt 0x0
	s_barrier_signal -1
	s_barrier_wait -1
	s_and_saveexec_b32 s0, vcc_lo
	s_xor_b32 s2, exec_lo, s0
	s_cbranch_execz .LBB6_17
; %bb.13:
	s_mov_b32 s8, exec_lo
	v_cmpx_gt_u32_e32 0xc0, v0
	s_cbranch_execz .LBB6_16
; %bb.14:
	v_subrev_nc_u32_e32 v4, 64, v0
	s_delay_alu instid0(VALU_DEP_1)
	v_cmp_gt_i32_e64 s0, s1, v4
	s_and_b32 exec_lo, exec_lo, s0
	s_cbranch_execz .LBB6_16
; %bb.15:
	v_add_nc_u32_e32 v4, 0xffffff80, v3
	ds_load_u16 v5, v1
	ds_load_u16 v4, v4
	s_wait_dscnt 0x0
	v_max_i16 v4, v5, v4
	ds_store_b16 v1, v4
.LBB6_16:
	s_or_b32 exec_lo, exec_lo, s8
.LBB6_17:
	s_and_not1_saveexec_b32 s2, s2
	s_cbranch_execz .LBB6_22
; %bb.18:
	s_mov_b32 s8, exec_lo
	v_cmpx_gt_u32_e32 64, v0
	s_cbranch_execz .LBB6_21
; %bb.19:
	v_or_b32_e32 v4, 64, v0
	s_delay_alu instid0(VALU_DEP_1)
	v_cmp_gt_i32_e64 s0, s1, v4
	s_and_b32 exec_lo, exec_lo, s0
	s_cbranch_execz .LBB6_21
; %bb.20:
	ds_load_u16 v4, v2
	ds_load_u16 v5, v2 offset:128
	s_wait_dscnt 0x0
	v_min_i16 v4, v4, v5
	ds_store_b16 v2, v4
.LBB6_21:
	s_or_b32 exec_lo, exec_lo, s8
.LBB6_22:
	s_delay_alu instid0(SALU_CYCLE_1) | instskip(SKIP_4) | instid1(SALU_CYCLE_1)
	s_or_b32 exec_lo, exec_lo, s2
	s_wait_dscnt 0x0
	s_barrier_signal -1
	s_barrier_wait -1
	s_and_saveexec_b32 s0, vcc_lo
	s_xor_b32 s2, exec_lo, s0
	s_cbranch_execz .LBB6_27
; %bb.23:
	s_mov_b32 s8, exec_lo
	v_cmpx_gt_u32_e32 0xa0, v0
	s_cbranch_execz .LBB6_26
; %bb.24:
	v_add_nc_u32_e32 v4, 0xffffffa0, v0
	s_delay_alu instid0(VALU_DEP_1)
	v_cmp_gt_i32_e64 s0, s1, v4
	s_and_b32 exec_lo, exec_lo, s0
	s_cbranch_execz .LBB6_26
; %bb.25:
	v_add_nc_u32_e32 v4, 0xffffff40, v3
	ds_load_u16 v5, v1
	ds_load_u16 v4, v4
	s_wait_dscnt 0x0
	v_max_i16 v4, v5, v4
	ds_store_b16 v1, v4
.LBB6_26:
	s_or_b32 exec_lo, exec_lo, s8
.LBB6_27:
	s_and_not1_saveexec_b32 s2, s2
	s_cbranch_execz .LBB6_32
; %bb.28:
	s_mov_b32 s8, exec_lo
	v_cmpx_gt_u32_e32 32, v0
	s_cbranch_execz .LBB6_31
; %bb.29:
	v_or_b32_e32 v4, 32, v0
	s_delay_alu instid0(VALU_DEP_1)
	v_cmp_gt_i32_e64 s0, s1, v4
	s_and_b32 exec_lo, exec_lo, s0
	s_cbranch_execz .LBB6_31
; %bb.30:
	ds_load_u16 v4, v2
	ds_load_u16 v5, v2 offset:64
	s_wait_dscnt 0x0
	v_min_i16 v4, v4, v5
	ds_store_b16 v2, v4
.LBB6_31:
	s_or_b32 exec_lo, exec_lo, s8
.LBB6_32:
	s_delay_alu instid0(SALU_CYCLE_1) | instskip(SKIP_4) | instid1(SALU_CYCLE_1)
	s_or_b32 exec_lo, exec_lo, s2
	s_wait_dscnt 0x0
	s_barrier_signal -1
	s_barrier_wait -1
	s_and_saveexec_b32 s0, vcc_lo
	s_xor_b32 s2, exec_lo, s0
	s_cbranch_execz .LBB6_37
; %bb.33:
	s_mov_b32 s8, exec_lo
	v_cmpx_gt_u32_e32 0x90, v0
	s_cbranch_execz .LBB6_36
; %bb.34:
	v_add_nc_u32_e32 v4, 0xffffff90, v0
	s_delay_alu instid0(VALU_DEP_1)
	v_cmp_gt_i32_e64 s0, s1, v4
	s_and_b32 exec_lo, exec_lo, s0
	s_cbranch_execz .LBB6_36
; %bb.35:
	v_add_nc_u32_e32 v4, 0xffffff20, v3
	ds_load_u16 v5, v1
	ds_load_u16 v4, v4
	s_wait_dscnt 0x0
	v_max_i16 v4, v5, v4
	ds_store_b16 v1, v4
.LBB6_36:
	s_or_b32 exec_lo, exec_lo, s8
.LBB6_37:
	s_and_not1_saveexec_b32 s2, s2
	s_cbranch_execz .LBB6_42
; %bb.38:
	s_mov_b32 s8, exec_lo
	v_cmpx_gt_u32_e32 16, v0
	s_cbranch_execz .LBB6_41
; %bb.39:
	v_or_b32_e32 v4, 16, v0
	s_delay_alu instid0(VALU_DEP_1)
	v_cmp_gt_i32_e64 s0, s1, v4
	s_and_b32 exec_lo, exec_lo, s0
	s_cbranch_execz .LBB6_41
; %bb.40:
	ds_load_u16 v4, v2
	ds_load_u16 v5, v2 offset:32
	s_wait_dscnt 0x0
	v_min_i16 v4, v4, v5
	ds_store_b16 v2, v4
.LBB6_41:
	s_or_b32 exec_lo, exec_lo, s8
.LBB6_42:
	s_delay_alu instid0(SALU_CYCLE_1) | instskip(SKIP_4) | instid1(SALU_CYCLE_1)
	s_or_b32 exec_lo, exec_lo, s2
	s_wait_dscnt 0x0
	s_barrier_signal -1
	s_barrier_wait -1
	s_and_saveexec_b32 s0, vcc_lo
	s_xor_b32 s2, exec_lo, s0
	s_cbranch_execz .LBB6_47
; %bb.43:
	s_mov_b32 s8, exec_lo
	v_cmpx_gt_u32_e32 0x88, v0
	s_cbranch_execz .LBB6_46
; %bb.44:
	v_add_nc_u32_e32 v4, 0xffffff88, v0
	s_delay_alu instid0(VALU_DEP_1)
	v_cmp_gt_i32_e64 s0, s1, v4
	s_and_b32 exec_lo, exec_lo, s0
	s_cbranch_execz .LBB6_46
; %bb.45:
	v_add_nc_u32_e32 v4, 0xffffff10, v3
	ds_load_u16 v5, v1
	ds_load_u16 v4, v4
	s_wait_dscnt 0x0
	v_max_i16 v4, v5, v4
	ds_store_b16 v1, v4
.LBB6_46:
	s_or_b32 exec_lo, exec_lo, s8
.LBB6_47:
	s_and_not1_saveexec_b32 s2, s2
	s_cbranch_execz .LBB6_52
; %bb.48:
	s_mov_b32 s8, exec_lo
	v_cmpx_gt_u32_e32 8, v0
	s_cbranch_execz .LBB6_51
; %bb.49:
	v_or_b32_e32 v4, 8, v0
	s_delay_alu instid0(VALU_DEP_1)
	v_cmp_gt_i32_e64 s0, s1, v4
	s_and_b32 exec_lo, exec_lo, s0
	s_cbranch_execz .LBB6_51
; %bb.50:
	ds_load_u16 v4, v2
	ds_load_u16 v5, v2 offset:16
	s_wait_dscnt 0x0
	v_min_i16 v4, v4, v5
	ds_store_b16 v2, v4
.LBB6_51:
	s_or_b32 exec_lo, exec_lo, s8
.LBB6_52:
	s_delay_alu instid0(SALU_CYCLE_1) | instskip(SKIP_4) | instid1(SALU_CYCLE_1)
	s_or_b32 exec_lo, exec_lo, s2
	s_wait_dscnt 0x0
	s_barrier_signal -1
	s_barrier_wait -1
	s_and_saveexec_b32 s0, vcc_lo
	s_xor_b32 s2, exec_lo, s0
	s_cbranch_execz .LBB6_57
; %bb.53:
	s_mov_b32 s8, exec_lo
	v_cmpx_gt_u32_e32 0x84, v0
	s_cbranch_execz .LBB6_56
; %bb.54:
	v_add_nc_u32_e32 v4, 0xffffff84, v0
	s_delay_alu instid0(VALU_DEP_1)
	v_cmp_gt_i32_e64 s0, s1, v4
	s_and_b32 exec_lo, exec_lo, s0
	s_cbranch_execz .LBB6_56
; %bb.55:
	v_add_nc_u32_e32 v4, 0xffffff08, v3
	ds_load_u16 v5, v1
	ds_load_u16 v4, v4
	s_wait_dscnt 0x0
	v_max_i16 v4, v5, v4
	ds_store_b16 v1, v4
.LBB6_56:
	s_or_b32 exec_lo, exec_lo, s8
.LBB6_57:
	s_and_not1_saveexec_b32 s2, s2
	s_cbranch_execz .LBB6_62
; %bb.58:
	s_mov_b32 s8, exec_lo
	v_cmpx_gt_u32_e32 4, v0
	s_cbranch_execz .LBB6_61
; %bb.59:
	v_or_b32_e32 v4, 4, v0
	s_delay_alu instid0(VALU_DEP_1)
	v_cmp_gt_i32_e64 s0, s1, v4
	s_and_b32 exec_lo, exec_lo, s0
	s_cbranch_execz .LBB6_61
; %bb.60:
	ds_load_u16 v4, v2
	ds_load_u16 v5, v2 offset:8
	s_wait_dscnt 0x0
	v_min_i16 v4, v4, v5
	ds_store_b16 v2, v4
.LBB6_61:
	s_or_b32 exec_lo, exec_lo, s8
.LBB6_62:
	s_delay_alu instid0(SALU_CYCLE_1) | instskip(SKIP_4) | instid1(SALU_CYCLE_1)
	s_or_b32 exec_lo, exec_lo, s2
	s_wait_dscnt 0x0
	s_barrier_signal -1
	s_barrier_wait -1
	s_and_saveexec_b32 s0, vcc_lo
	s_xor_b32 s2, exec_lo, s0
	s_cbranch_execz .LBB6_67
; %bb.63:
	s_mov_b32 s8, exec_lo
	v_cmpx_gt_u32_e32 0x82, v0
	s_cbranch_execz .LBB6_66
; %bb.64:
	v_add_nc_u32_e32 v4, 0xffffff82, v0
	s_delay_alu instid0(VALU_DEP_1)
	v_cmp_gt_i32_e64 s0, s1, v4
	s_and_b32 exec_lo, exec_lo, s0
	s_cbranch_execz .LBB6_66
; %bb.65:
	v_add_nc_u32_e32 v3, 0xffffff04, v3
	ds_load_u16 v4, v1
	ds_load_u16 v3, v3
	s_wait_dscnt 0x0
	v_max_i16 v3, v4, v3
	ds_store_b16 v1, v3
.LBB6_66:
	s_or_b32 exec_lo, exec_lo, s8
.LBB6_67:
	s_and_not1_saveexec_b32 s2, s2
	s_cbranch_execz .LBB6_72
; %bb.68:
	s_mov_b32 s8, exec_lo
	v_cmpx_gt_u32_e32 2, v0
	s_cbranch_execz .LBB6_71
; %bb.69:
	v_or_b32_e32 v3, 2, v0
	s_delay_alu instid0(VALU_DEP_1)
	v_cmp_gt_i32_e64 s0, s1, v3
	s_and_b32 exec_lo, exec_lo, s0
	s_cbranch_execz .LBB6_71
; %bb.70:
	ds_load_u16 v3, v2
	ds_load_u16 v4, v2 offset:4
	s_wait_dscnt 0x0
	v_min_i16 v3, v3, v4
	ds_store_b16 v2, v3
.LBB6_71:
	s_or_b32 exec_lo, exec_lo, s8
.LBB6_72:
	s_delay_alu instid0(SALU_CYCLE_1)
	s_or_b32 exec_lo, exec_lo, s2
	s_cmp_gt_i32 s1, 1
	s_wait_dscnt 0x0
	s_cselect_b32 s0, -1, 0
	s_barrier_signal -1
	s_barrier_wait -1
	s_and_saveexec_b32 s1, vcc_lo
	s_delay_alu instid0(SALU_CYCLE_1)
	s_xor_b32 s1, exec_lo, s1
	s_cbranch_execz .LBB6_76
; %bb.73:
	v_cmp_eq_u32_e32 vcc_lo, 0x80, v0
	s_and_b32 s8, vcc_lo, s0
	s_delay_alu instid0(SALU_CYCLE_1)
	s_and_saveexec_b32 s2, s8
	s_cbranch_execz .LBB6_75
; %bb.74:
	v_mov_b32_e32 v2, 0
	ds_load_u16 v3, v1
	ds_load_u16 v2, v2 offset:2
	s_wait_dscnt 0x0
	v_max_i16 v2, v3, v2
	ds_store_b16 v1, v2
.LBB6_75:
	s_or_b32 exec_lo, exec_lo, s2
                                        ; implicit-def: $vgpr2
.LBB6_76:
	s_and_not1_saveexec_b32 s1, s1
	s_cbranch_execz .LBB6_80
; %bb.77:
	v_cmp_eq_u32_e32 vcc_lo, 0, v0
	s_and_b32 s2, vcc_lo, s0
	s_delay_alu instid0(SALU_CYCLE_1)
	s_and_saveexec_b32 s0, s2
	s_cbranch_execz .LBB6_79
; %bb.78:
	v_mov_b32_e32 v1, 0
	ds_load_u16 v3, v2
	ds_load_u16 v1, v1 offset:514
	s_wait_dscnt 0x0
	v_min_i16 v1, v3, v1
	ds_store_b16 v2, v1
.LBB6_79:
	s_or_b32 exec_lo, exec_lo, s0
.LBB6_80:
	s_delay_alu instid0(SALU_CYCLE_1)
	s_or_b32 exec_lo, exec_lo, s1
	s_wait_dscnt 0x0
	s_barrier_signal -1
	s_barrier_wait -1
	s_mov_b32 s0, exec_lo
	v_cmpx_eq_u32_e32 0, v0
	s_cbranch_execz .LBB6_82
; %bb.81:
	v_dual_mov_b32 v0, 0 :: v_dual_mov_b32 v2, s3
	ds_load_u16 v1, v0 offset:512
	ds_load_u16 v0, v0
	s_wait_dscnt 0x1
	global_store_b16 v2, v1, s[4:5] scale_offset
	s_wait_dscnt 0x0
	global_store_b16 v2, v0, s[6:7] scale_offset
.LBB6_82:
	s_endpgm
.LBB6_83:
.LBB6_84:
	s_load_b32 s0, s[0:1], 0x20
	s_wait_xcnt 0x0
	s_lshl_b32 s1, s3, 8
	v_dual_mov_b32 v1, 0 :: v_dual_mov_b32 v2, 0
	v_add_nc_u32_e32 v3, s1, v0
	s_mov_b32 s11, 0
	s_sub_co_i32 s2, s2, s1
	s_mov_b32 s1, 0
	s_wait_kmcnt 0x0
	s_lshl_b32 s12, s0, 8
	s_branch .LBB6_86
.LBB6_85:                               ;   in Loop: Header=BB6_86 Depth=1
	s_or_b32 exec_lo, exec_lo, s14
	s_add_co_i32 s11, s11, s0
	v_add_nc_u32_e32 v3, s12, v3
	s_max_i32 s1, s1, s13
	s_add_co_i32 s13, s3, s11
	s_sub_co_i32 s2, s2, s12
	s_cmp_ge_i32 s13, s10
	s_cbranch_scc1 .LBB6_4
.LBB6_86:                               ; =>This Inner Loop Header: Depth=1
	s_min_i32 s13, s2, 0x100
	s_mov_b32 s14, exec_lo
	v_cmpx_gt_u32_e64 s13, v0
	s_cbranch_execz .LBB6_85
; %bb.87:                               ;   in Loop: Header=BB6_86 Depth=1
	global_load_u16 v4, v3, s[8:9] scale_offset
	s_cmp_eq_u32 s11, 0
	s_cselect_b32 vcc_lo, -1, 0
	s_wait_loadcnt 0x0
	v_max_i16 v2, v4, v2
	v_min_i16 v1, v4, v1
	s_delay_alu instid0(VALU_DEP_1)
	v_dual_cndmask_b32 v2, v2, v4 :: v_dual_cndmask_b32 v1, v1, v4
	s_branch .LBB6_85
	.section	.rodata,"a",@progbits
	.p2align	6, 0x0
	.amdhsa_kernel _Z23bitPackConfigScanKernelIssEvPT_S1_PKT0_PKm
		.amdhsa_group_segment_fixed_size 1024
		.amdhsa_private_segment_fixed_size 0
		.amdhsa_kernarg_size 288
		.amdhsa_user_sgpr_count 2
		.amdhsa_user_sgpr_dispatch_ptr 0
		.amdhsa_user_sgpr_queue_ptr 0
		.amdhsa_user_sgpr_kernarg_segment_ptr 1
		.amdhsa_user_sgpr_dispatch_id 0
		.amdhsa_user_sgpr_kernarg_preload_length 0
		.amdhsa_user_sgpr_kernarg_preload_offset 0
		.amdhsa_user_sgpr_private_segment_size 0
		.amdhsa_wavefront_size32 1
		.amdhsa_uses_dynamic_stack 0
		.amdhsa_enable_private_segment 0
		.amdhsa_system_sgpr_workgroup_id_x 1
		.amdhsa_system_sgpr_workgroup_id_y 0
		.amdhsa_system_sgpr_workgroup_id_z 0
		.amdhsa_system_sgpr_workgroup_info 0
		.amdhsa_system_vgpr_workitem_id 0
		.amdhsa_next_free_vgpr 6
		.amdhsa_next_free_sgpr 15
		.amdhsa_named_barrier_count 0
		.amdhsa_reserve_vcc 1
		.amdhsa_float_round_mode_32 0
		.amdhsa_float_round_mode_16_64 0
		.amdhsa_float_denorm_mode_32 3
		.amdhsa_float_denorm_mode_16_64 3
		.amdhsa_fp16_overflow 0
		.amdhsa_memory_ordered 1
		.amdhsa_forward_progress 1
		.amdhsa_inst_pref_size 16
		.amdhsa_round_robin_scheduling 0
		.amdhsa_exception_fp_ieee_invalid_op 0
		.amdhsa_exception_fp_denorm_src 0
		.amdhsa_exception_fp_ieee_div_zero 0
		.amdhsa_exception_fp_ieee_overflow 0
		.amdhsa_exception_fp_ieee_underflow 0
		.amdhsa_exception_fp_ieee_inexact 0
		.amdhsa_exception_int_div_zero 0
	.end_amdhsa_kernel
	.section	.text._Z23bitPackConfigScanKernelIssEvPT_S1_PKT0_PKm,"axG",@progbits,_Z23bitPackConfigScanKernelIssEvPT_S1_PKT0_PKm,comdat
.Lfunc_end6:
	.size	_Z23bitPackConfigScanKernelIssEvPT_S1_PKT0_PKm, .Lfunc_end6-_Z23bitPackConfigScanKernelIssEvPT_S1_PKT0_PKm
                                        ; -- End function
	.set _Z23bitPackConfigScanKernelIssEvPT_S1_PKT0_PKm.num_vgpr, 6
	.set _Z23bitPackConfigScanKernelIssEvPT_S1_PKT0_PKm.num_agpr, 0
	.set _Z23bitPackConfigScanKernelIssEvPT_S1_PKT0_PKm.numbered_sgpr, 15
	.set _Z23bitPackConfigScanKernelIssEvPT_S1_PKT0_PKm.num_named_barrier, 0
	.set _Z23bitPackConfigScanKernelIssEvPT_S1_PKT0_PKm.private_seg_size, 0
	.set _Z23bitPackConfigScanKernelIssEvPT_S1_PKT0_PKm.uses_vcc, 1
	.set _Z23bitPackConfigScanKernelIssEvPT_S1_PKT0_PKm.uses_flat_scratch, 0
	.set _Z23bitPackConfigScanKernelIssEvPT_S1_PKT0_PKm.has_dyn_sized_stack, 0
	.set _Z23bitPackConfigScanKernelIssEvPT_S1_PKT0_PKm.has_recursion, 0
	.set _Z23bitPackConfigScanKernelIssEvPT_S1_PKT0_PKm.has_indirect_call, 0
	.section	.AMDGPU.csdata,"",@progbits
; Kernel info:
; codeLenInByte = 2024
; TotalNumSgprs: 17
; NumVgprs: 6
; ScratchSize: 0
; MemoryBound: 0
; FloatMode: 240
; IeeeMode: 1
; LDSByteSize: 1024 bytes/workgroup (compile time only)
; SGPRBlocks: 0
; VGPRBlocks: 0
; NumSGPRsForWavesPerEU: 17
; NumVGPRsForWavesPerEU: 6
; NamedBarCnt: 0
; Occupancy: 16
; WaveLimiterHint : 0
; COMPUTE_PGM_RSRC2:SCRATCH_EN: 0
; COMPUTE_PGM_RSRC2:USER_SGPR: 2
; COMPUTE_PGM_RSRC2:TRAP_HANDLER: 0
; COMPUTE_PGM_RSRC2:TGID_X_EN: 1
; COMPUTE_PGM_RSRC2:TGID_Y_EN: 0
; COMPUTE_PGM_RSRC2:TGID_Z_EN: 0
; COMPUTE_PGM_RSRC2:TIDIG_COMP_CNT: 0
	.section	.text._Z27bitPackConfigFinalizeKernelIssEvPKT_S2_PhPT0_PKm,"axG",@progbits,_Z27bitPackConfigFinalizeKernelIssEvPKT_S2_PhPT0_PKm,comdat
	.protected	_Z27bitPackConfigFinalizeKernelIssEvPKT_S2_PhPT0_PKm ; -- Begin function _Z27bitPackConfigFinalizeKernelIssEvPKT_S2_PhPT0_PKm
	.globl	_Z27bitPackConfigFinalizeKernelIssEvPKT_S2_PhPT0_PKm
	.p2align	8
	.type	_Z27bitPackConfigFinalizeKernelIssEvPKT_S2_PhPT0_PKm,@function
_Z27bitPackConfigFinalizeKernelIssEvPKT_S2_PhPT0_PKm: ; @_Z27bitPackConfigFinalizeKernelIssEvPKT_S2_PhPT0_PKm
; %bb.0:
	s_load_b64 s[2:3], s[0:1], 0x20
	s_wait_kmcnt 0x0
	s_load_b64 s[2:3], s[2:3], 0x0
	s_wait_kmcnt 0x0
	s_and_b64 s[4:5], s[2:3], 0xff
	s_lshr_b64 s[2:3], s[2:3], 8
	s_cmp_lg_u64 s[4:5], 0
	s_mov_b32 s4, 0
	s_cselect_b32 s5, -1, 0
	v_mov_b32_e32 v3, s4
	v_cndmask_b32_e64 v2, 0, 1, s5
	s_load_b256 s[4:11], s[0:1], 0x0
	s_wait_xcnt 0x0
	s_mov_b32 s1, exec_lo
	s_delay_alu instid0(VALU_DEP_1) | instskip(NEXT) | instid1(VALU_DEP_1)
	v_add_nc_u64_e32 v[2:3], s[2:3], v[2:3]
	v_min_u64 v[4:5], 0x1000, v[2:3]
	s_delay_alu instid0(VALU_DEP_1)
	v_cmpx_lt_u32_e64 v0, v4
	s_cbranch_execz .LBB7_6
; %bb.1:
	s_wait_kmcnt 0x0
	s_clause 0x1
	global_load_u16 v1, v0, s[4:5] scale_offset
	global_load_u16 v5, v0, s[6:7] scale_offset
	v_add_nc_u32_e32 v10, 0x100, v0
	s_mov_b32 s2, exec_lo
	s_wait_xcnt 0x0
	s_delay_alu instid0(VALU_DEP_1)
	v_cmpx_lt_u32_e64 v10, v4
	s_cbranch_execz .LBB7_5
; %bb.2:
	v_dual_mov_b32 v7, 0 :: v_dual_lshlrev_b32 v6, 1, v0
	s_mov_b32 s3, 0
	s_delay_alu instid0(VALU_DEP_1) | instskip(NEXT) | instid1(VALU_DEP_1)
	v_add_nc_u64_e32 v[8:9], 0x200, v[6:7]
	v_add_nc_u64_e32 v[6:7], s[4:5], v[8:9]
	;; [unrolled: 1-line block ×3, first 2 shown]
.LBB7_3:                                ; =>This Inner Loop Header: Depth=1
	global_load_u16 v11, v[6:7], off
	global_load_u16 v12, v[8:9], off
	v_add_nc_u32_e32 v13, 0x100, v10
	v_cmp_lt_u32_e32 vcc_lo, 0xeff, v10
	s_wait_xcnt 0x1
	v_add_nc_u64_e32 v[6:7], 0x200, v[6:7]
	s_wait_xcnt 0x0
	v_add_nc_u64_e32 v[8:9], 0x200, v[8:9]
	v_cmp_ge_u32_e64 s0, v13, v4
	v_mov_b32_e32 v10, v13
	s_or_b32 s0, vcc_lo, s0
	s_delay_alu instid0(SALU_CYCLE_1) | instskip(NEXT) | instid1(SALU_CYCLE_1)
	s_and_b32 s0, exec_lo, s0
	s_or_b32 s3, s0, s3
	s_wait_loadcnt 0x1
	v_min_i16 v1, v11, v1
	s_wait_loadcnt 0x0
	v_max_i16 v5, v12, v5
	s_and_not1_b32 exec_lo, exec_lo, s3
	s_cbranch_execnz .LBB7_3
; %bb.4:
	s_or_b32 exec_lo, exec_lo, s3
.LBB7_5:
	s_delay_alu instid0(SALU_CYCLE_1)
	s_or_b32 exec_lo, exec_lo, s2
	v_lshlrev_b32_e32 v6, 1, v0
	s_wait_loadcnt 0x1
	ds_store_b16 v6, v1 offset:512
	s_wait_loadcnt 0x0
	ds_store_b16 v6, v5
.LBB7_6:
	s_or_b32 exec_lo, exec_lo, s1
	v_lshlrev_b32_e32 v6, 1, v0
	v_min_u32_e32 v5, 0x100, v4
	v_cmp_lt_u32_e32 vcc_lo, 0x7f, v0
	s_wait_dscnt 0x0
	s_barrier_signal -1
	v_add_nc_u32_e32 v1, 0xffffff00, v6
	s_barrier_wait -1
	s_and_saveexec_b32 s0, vcc_lo
	s_delay_alu instid0(SALU_CYCLE_1)
	s_xor_b32 s1, exec_lo, s0
	s_cbranch_execz .LBB7_10
; %bb.7:
	s_mov_b32 s2, exec_lo
	v_cmpx_lt_u32_e64 v0, v5
	s_cbranch_execz .LBB7_9
; %bb.8:
	ds_load_u16 v4, v1
	ds_load_u16 v7, v6
	s_wait_dscnt 0x0
	v_max_i16 v4, v4, v7
	ds_store_b16 v1, v4
.LBB7_9:
	s_or_b32 exec_lo, exec_lo, s2
.LBB7_10:
	s_or_saveexec_b32 s1, s1
	v_add_nc_u32_e32 v4, 0x200, v6
	s_xor_b32 exec_lo, exec_lo, s1
	s_cbranch_execz .LBB7_14
; %bb.11:
	v_or_b32_e32 v7, 0x80, v0
	s_mov_b32 s2, exec_lo
	s_delay_alu instid0(VALU_DEP_1)
	v_cmpx_lt_u32_e64 v7, v5
	s_cbranch_execz .LBB7_13
; %bb.12:
	ds_load_u16 v7, v4
	ds_load_u16 v8, v4 offset:256
	s_wait_dscnt 0x0
	v_min_i16 v7, v7, v8
	ds_store_b16 v4, v7
.LBB7_13:
	s_or_b32 exec_lo, exec_lo, s2
.LBB7_14:
	s_delay_alu instid0(SALU_CYCLE_1) | instskip(SKIP_4) | instid1(SALU_CYCLE_1)
	s_or_b32 exec_lo, exec_lo, s1
	s_wait_dscnt 0x0
	s_barrier_signal -1
	s_barrier_wait -1
	s_and_saveexec_b32 s0, vcc_lo
	s_xor_b32 s1, exec_lo, s0
	s_cbranch_execz .LBB7_19
; %bb.15:
	s_mov_b32 s2, exec_lo
	v_cmpx_gt_u32_e32 0xc0, v0
	s_cbranch_execz .LBB7_18
; %bb.16:
	v_subrev_nc_u32_e32 v7, 64, v0
	s_delay_alu instid0(VALU_DEP_1)
	v_cmp_lt_u32_e64 s0, v7, v5
	s_and_b32 exec_lo, exec_lo, s0
	s_cbranch_execz .LBB7_18
; %bb.17:
	v_add_nc_u32_e32 v7, 0xffffff80, v6
	ds_load_u16 v8, v1
	ds_load_u16 v7, v7
	s_wait_dscnt 0x0
	v_max_i16 v7, v8, v7
	ds_store_b16 v1, v7
.LBB7_18:
	s_or_b32 exec_lo, exec_lo, s2
.LBB7_19:
	s_and_not1_saveexec_b32 s1, s1
	s_cbranch_execz .LBB7_24
; %bb.20:
	s_mov_b32 s2, exec_lo
	v_cmpx_gt_u32_e32 64, v0
	s_cbranch_execz .LBB7_23
; %bb.21:
	v_or_b32_e32 v7, 64, v0
	s_delay_alu instid0(VALU_DEP_1)
	v_cmp_lt_u32_e64 s0, v7, v5
	s_and_b32 exec_lo, exec_lo, s0
	s_cbranch_execz .LBB7_23
; %bb.22:
	ds_load_u16 v7, v4
	ds_load_u16 v8, v4 offset:128
	s_wait_dscnt 0x0
	v_min_i16 v7, v7, v8
	ds_store_b16 v4, v7
.LBB7_23:
	s_or_b32 exec_lo, exec_lo, s2
.LBB7_24:
	s_delay_alu instid0(SALU_CYCLE_1) | instskip(SKIP_4) | instid1(SALU_CYCLE_1)
	s_or_b32 exec_lo, exec_lo, s1
	s_wait_dscnt 0x0
	s_barrier_signal -1
	s_barrier_wait -1
	s_and_saveexec_b32 s0, vcc_lo
	s_xor_b32 s1, exec_lo, s0
	s_cbranch_execz .LBB7_29
; %bb.25:
	s_mov_b32 s2, exec_lo
	v_cmpx_gt_u32_e32 0xa0, v0
	s_cbranch_execz .LBB7_28
; %bb.26:
	v_add_nc_u32_e32 v7, 0xffffffa0, v0
	s_delay_alu instid0(VALU_DEP_1)
	v_cmp_lt_u32_e64 s0, v7, v5
	s_and_b32 exec_lo, exec_lo, s0
	s_cbranch_execz .LBB7_28
; %bb.27:
	v_add_nc_u32_e32 v7, 0xffffff40, v6
	ds_load_u16 v8, v1
	ds_load_u16 v7, v7
	s_wait_dscnt 0x0
	v_max_i16 v7, v8, v7
	ds_store_b16 v1, v7
.LBB7_28:
	s_or_b32 exec_lo, exec_lo, s2
.LBB7_29:
	s_and_not1_saveexec_b32 s1, s1
	s_cbranch_execz .LBB7_34
; %bb.30:
	s_mov_b32 s2, exec_lo
	v_cmpx_gt_u32_e32 32, v0
	s_cbranch_execz .LBB7_33
; %bb.31:
	v_or_b32_e32 v7, 32, v0
	s_delay_alu instid0(VALU_DEP_1)
	v_cmp_lt_u32_e64 s0, v7, v5
	s_and_b32 exec_lo, exec_lo, s0
	s_cbranch_execz .LBB7_33
; %bb.32:
	ds_load_u16 v7, v4
	ds_load_u16 v8, v4 offset:64
	s_wait_dscnt 0x0
	v_min_i16 v7, v7, v8
	ds_store_b16 v4, v7
.LBB7_33:
	s_or_b32 exec_lo, exec_lo, s2
.LBB7_34:
	s_delay_alu instid0(SALU_CYCLE_1) | instskip(SKIP_4) | instid1(SALU_CYCLE_1)
	s_or_b32 exec_lo, exec_lo, s1
	s_wait_dscnt 0x0
	s_barrier_signal -1
	s_barrier_wait -1
	s_and_saveexec_b32 s0, vcc_lo
	s_xor_b32 s1, exec_lo, s0
	s_cbranch_execz .LBB7_39
; %bb.35:
	s_mov_b32 s2, exec_lo
	v_cmpx_gt_u32_e32 0x90, v0
	s_cbranch_execz .LBB7_38
; %bb.36:
	v_add_nc_u32_e32 v7, 0xffffff90, v0
	s_delay_alu instid0(VALU_DEP_1)
	v_cmp_lt_u32_e64 s0, v7, v5
	s_and_b32 exec_lo, exec_lo, s0
	s_cbranch_execz .LBB7_38
; %bb.37:
	v_add_nc_u32_e32 v7, 0xffffff20, v6
	ds_load_u16 v8, v1
	ds_load_u16 v7, v7
	s_wait_dscnt 0x0
	v_max_i16 v7, v8, v7
	ds_store_b16 v1, v7
.LBB7_38:
	s_or_b32 exec_lo, exec_lo, s2
.LBB7_39:
	;; [unrolled: 49-line block ×4, first 2 shown]
	s_and_not1_saveexec_b32 s1, s1
	s_cbranch_execz .LBB7_64
; %bb.60:
	s_mov_b32 s2, exec_lo
	v_cmpx_gt_u32_e32 4, v0
	s_cbranch_execz .LBB7_63
; %bb.61:
	v_or_b32_e32 v7, 4, v0
	s_delay_alu instid0(VALU_DEP_1)
	v_cmp_lt_u32_e64 s0, v7, v5
	s_and_b32 exec_lo, exec_lo, s0
	s_cbranch_execz .LBB7_63
; %bb.62:
	ds_load_u16 v7, v4
	ds_load_u16 v8, v4 offset:8
	s_wait_dscnt 0x0
	v_min_i16 v7, v7, v8
	ds_store_b16 v4, v7
.LBB7_63:
	s_or_b32 exec_lo, exec_lo, s2
.LBB7_64:
	s_delay_alu instid0(SALU_CYCLE_1) | instskip(SKIP_4) | instid1(SALU_CYCLE_1)
	s_or_b32 exec_lo, exec_lo, s1
	s_wait_dscnt 0x0
	s_barrier_signal -1
	s_barrier_wait -1
	s_and_saveexec_b32 s0, vcc_lo
	s_xor_b32 s1, exec_lo, s0
	s_cbranch_execz .LBB7_69
; %bb.65:
	s_mov_b32 s2, exec_lo
	v_cmpx_gt_u32_e32 0x82, v0
	s_cbranch_execz .LBB7_68
; %bb.66:
	v_add_nc_u32_e32 v7, 0xffffff82, v0
	s_delay_alu instid0(VALU_DEP_1)
	v_cmp_lt_u32_e64 s0, v7, v5
	s_and_b32 exec_lo, exec_lo, s0
	s_cbranch_execz .LBB7_68
; %bb.67:
	v_add_nc_u32_e32 v5, 0xffffff04, v6
	ds_load_u16 v6, v1
	ds_load_u16 v5, v5
	s_wait_dscnt 0x0
	v_max_i16 v5, v6, v5
	ds_store_b16 v1, v5
.LBB7_68:
	s_or_b32 exec_lo, exec_lo, s2
                                        ; implicit-def: $vgpr5
.LBB7_69:
	s_and_not1_saveexec_b32 s1, s1
	s_cbranch_execz .LBB7_74
; %bb.70:
	s_mov_b32 s2, exec_lo
	v_cmpx_gt_u32_e32 2, v0
	s_cbranch_execz .LBB7_73
; %bb.71:
	v_or_b32_e32 v6, 2, v0
	s_delay_alu instid0(VALU_DEP_1)
	v_cmp_lt_u32_e64 s0, v6, v5
	s_and_b32 exec_lo, exec_lo, s0
	s_cbranch_execz .LBB7_73
; %bb.72:
	ds_load_u16 v5, v4
	ds_load_u16 v6, v4 offset:4
	s_wait_dscnt 0x0
	v_min_i16 v5, v5, v6
	ds_store_b16 v4, v5
.LBB7_73:
	s_or_b32 exec_lo, exec_lo, s2
.LBB7_74:
	s_delay_alu instid0(SALU_CYCLE_1)
	s_or_b32 exec_lo, exec_lo, s1
	v_cmp_lt_u64_e64 s0, 1, v[2:3]
	s_wait_dscnt 0x0
	s_barrier_signal -1
	s_barrier_wait -1
	s_and_saveexec_b32 s1, vcc_lo
	s_delay_alu instid0(SALU_CYCLE_1)
	s_xor_b32 s1, exec_lo, s1
	s_cbranch_execz .LBB7_78
; %bb.75:
	v_cmp_eq_u32_e32 vcc_lo, 0x80, v0
	s_and_b32 s3, vcc_lo, s0
	s_delay_alu instid0(SALU_CYCLE_1)
	s_and_saveexec_b32 s2, s3
	s_cbranch_execz .LBB7_77
; %bb.76:
	v_mov_b32_e32 v2, 0
	ds_load_u16 v3, v1
	ds_load_u16 v2, v2 offset:2
	s_wait_dscnt 0x0
	v_max_i16 v2, v3, v2
	ds_store_b16 v1, v2
.LBB7_77:
	s_or_b32 exec_lo, exec_lo, s2
                                        ; implicit-def: $vgpr4
.LBB7_78:
	s_and_not1_saveexec_b32 s1, s1
	s_cbranch_execz .LBB7_82
; %bb.79:
	v_cmp_eq_u32_e32 vcc_lo, 0, v0
	s_and_b32 s2, vcc_lo, s0
	s_delay_alu instid0(SALU_CYCLE_1)
	s_and_saveexec_b32 s0, s2
	s_cbranch_execz .LBB7_81
; %bb.80:
	v_mov_b32_e32 v1, 0
	ds_load_u16 v2, v4
	ds_load_u16 v1, v1 offset:514
	s_wait_dscnt 0x0
	v_min_i16 v1, v2, v1
	ds_store_b16 v4, v1
.LBB7_81:
	s_or_b32 exec_lo, exec_lo, s0
.LBB7_82:
	s_delay_alu instid0(SALU_CYCLE_1)
	s_or_b32 exec_lo, exec_lo, s1
	s_wait_dscnt 0x0
	s_barrier_signal -1
	s_barrier_wait -1
	s_mov_b32 s0, exec_lo
	v_cmpx_eq_u32_e32 0, v0
	s_cbranch_execz .LBB7_84
; %bb.83:
	v_mov_b32_e32 v0, 0
	ds_load_u16 v1, v0 offset:512
	ds_load_i16 v2, v0
	s_wait_dscnt 0x1
	v_bfe_i32 v3, v1, 0, 16
	s_wait_dscnt 0x0
	s_delay_alu instid0(VALU_DEP_1) | instskip(NEXT) | instid1(VALU_DEP_1)
	v_sub_nc_u32_e32 v2, v2, v3
	v_clz_i32_u32_e32 v2, v2
	s_delay_alu instid0(VALU_DEP_1) | instskip(NEXT) | instid1(VALU_DEP_1)
	v_min_u32_e32 v2, 0xffff, v2
	v_sub_nc_u16 v2, 32, v2 clamp
	s_wait_kmcnt 0x0
	s_clause 0x1
	global_store_b16 v0, v1, s[10:11]
	global_store_b8 v0, v2, s[8:9]
.LBB7_84:
	s_endpgm
	.section	.rodata,"a",@progbits
	.p2align	6, 0x0
	.amdhsa_kernel _Z27bitPackConfigFinalizeKernelIssEvPKT_S2_PhPT0_PKm
		.amdhsa_group_segment_fixed_size 1024
		.amdhsa_private_segment_fixed_size 0
		.amdhsa_kernarg_size 40
		.amdhsa_user_sgpr_count 2
		.amdhsa_user_sgpr_dispatch_ptr 0
		.amdhsa_user_sgpr_queue_ptr 0
		.amdhsa_user_sgpr_kernarg_segment_ptr 1
		.amdhsa_user_sgpr_dispatch_id 0
		.amdhsa_user_sgpr_kernarg_preload_length 0
		.amdhsa_user_sgpr_kernarg_preload_offset 0
		.amdhsa_user_sgpr_private_segment_size 0
		.amdhsa_wavefront_size32 1
		.amdhsa_uses_dynamic_stack 0
		.amdhsa_enable_private_segment 0
		.amdhsa_system_sgpr_workgroup_id_x 1
		.amdhsa_system_sgpr_workgroup_id_y 0
		.amdhsa_system_sgpr_workgroup_id_z 0
		.amdhsa_system_sgpr_workgroup_info 0
		.amdhsa_system_vgpr_workitem_id 0
		.amdhsa_next_free_vgpr 14
		.amdhsa_next_free_sgpr 12
		.amdhsa_named_barrier_count 0
		.amdhsa_reserve_vcc 1
		.amdhsa_float_round_mode_32 0
		.amdhsa_float_round_mode_16_64 0
		.amdhsa_float_denorm_mode_32 3
		.amdhsa_float_denorm_mode_16_64 3
		.amdhsa_fp16_overflow 0
		.amdhsa_memory_ordered 1
		.amdhsa_forward_progress 1
		.amdhsa_inst_pref_size 17
		.amdhsa_round_robin_scheduling 0
		.amdhsa_exception_fp_ieee_invalid_op 0
		.amdhsa_exception_fp_denorm_src 0
		.amdhsa_exception_fp_ieee_div_zero 0
		.amdhsa_exception_fp_ieee_overflow 0
		.amdhsa_exception_fp_ieee_underflow 0
		.amdhsa_exception_fp_ieee_inexact 0
		.amdhsa_exception_int_div_zero 0
	.end_amdhsa_kernel
	.section	.text._Z27bitPackConfigFinalizeKernelIssEvPKT_S2_PhPT0_PKm,"axG",@progbits,_Z27bitPackConfigFinalizeKernelIssEvPKT_S2_PhPT0_PKm,comdat
.Lfunc_end7:
	.size	_Z27bitPackConfigFinalizeKernelIssEvPKT_S2_PhPT0_PKm, .Lfunc_end7-_Z27bitPackConfigFinalizeKernelIssEvPKT_S2_PhPT0_PKm
                                        ; -- End function
	.set _Z27bitPackConfigFinalizeKernelIssEvPKT_S2_PhPT0_PKm.num_vgpr, 14
	.set _Z27bitPackConfigFinalizeKernelIssEvPKT_S2_PhPT0_PKm.num_agpr, 0
	.set _Z27bitPackConfigFinalizeKernelIssEvPKT_S2_PhPT0_PKm.numbered_sgpr, 12
	.set _Z27bitPackConfigFinalizeKernelIssEvPKT_S2_PhPT0_PKm.num_named_barrier, 0
	.set _Z27bitPackConfigFinalizeKernelIssEvPKT_S2_PhPT0_PKm.private_seg_size, 0
	.set _Z27bitPackConfigFinalizeKernelIssEvPKT_S2_PhPT0_PKm.uses_vcc, 1
	.set _Z27bitPackConfigFinalizeKernelIssEvPKT_S2_PhPT0_PKm.uses_flat_scratch, 0
	.set _Z27bitPackConfigFinalizeKernelIssEvPKT_S2_PhPT0_PKm.has_dyn_sized_stack, 0
	.set _Z27bitPackConfigFinalizeKernelIssEvPKT_S2_PhPT0_PKm.has_recursion, 0
	.set _Z27bitPackConfigFinalizeKernelIssEvPKT_S2_PhPT0_PKm.has_indirect_call, 0
	.section	.AMDGPU.csdata,"",@progbits
; Kernel info:
; codeLenInByte = 2140
; TotalNumSgprs: 14
; NumVgprs: 14
; ScratchSize: 0
; MemoryBound: 0
; FloatMode: 240
; IeeeMode: 1
; LDSByteSize: 1024 bytes/workgroup (compile time only)
; SGPRBlocks: 0
; VGPRBlocks: 0
; NumSGPRsForWavesPerEU: 14
; NumVGPRsForWavesPerEU: 14
; NamedBarCnt: 0
; Occupancy: 16
; WaveLimiterHint : 0
; COMPUTE_PGM_RSRC2:SCRATCH_EN: 0
; COMPUTE_PGM_RSRC2:USER_SGPR: 2
; COMPUTE_PGM_RSRC2:TRAP_HANDLER: 0
; COMPUTE_PGM_RSRC2:TGID_X_EN: 1
; COMPUTE_PGM_RSRC2:TGID_Y_EN: 0
; COMPUTE_PGM_RSRC2:TGID_Z_EN: 0
; COMPUTE_PGM_RSRC2:TIDIG_COMP_CNT: 0
	.section	.text._Z13bitPackKernelIsjEvPKhPKT_PT0_S4_PKm,"axG",@progbits,_Z13bitPackKernelIsjEvPKhPKT_PT0_S4_PKm,comdat
	.protected	_Z13bitPackKernelIsjEvPKhPKT_PT0_S4_PKm ; -- Begin function _Z13bitPackKernelIsjEvPKhPKT_PT0_S4_PKm
	.globl	_Z13bitPackKernelIsjEvPKhPKT_PT0_S4_PKm
	.p2align	8
	.type	_Z13bitPackKernelIsjEvPKhPKT_PT0_S4_PKm,@function
_Z13bitPackKernelIsjEvPKhPKT_PT0_S4_PKm: ; @_Z13bitPackKernelIsjEvPKhPKT_PT0_S4_PKm
; %bb.0:
	s_load_b64 s[2:3], s[0:1], 0x20
	s_mov_b32 s13, 0
	s_wait_kmcnt 0x0
	s_load_b64 s[2:3], s[2:3], 0x0
	s_wait_kmcnt 0x0
	s_and_b64 s[4:5], s[2:3], 0xff
	s_lshr_b64 s[6:7], s[2:3], 8
	s_cmp_lg_u64 s[4:5], 0
	s_cselect_b32 s4, -1, 0
	s_delay_alu instid0(SALU_CYCLE_1)
	s_cmp_lg_u32 s4, 0
	s_add_co_ci_u32 s20, s6, 0
	s_bfe_u32 s4, ttmp6, 0x4000c
	s_and_b32 s5, ttmp6, 15
	s_add_co_i32 s4, s4, 1
	s_getreg_b32 s6, hwreg(HW_REG_IB_STS2, 6, 4)
	s_mul_i32 s4, ttmp9, s4
	s_delay_alu instid0(SALU_CYCLE_1) | instskip(SKIP_2) | instid1(SALU_CYCLE_1)
	s_add_co_i32 s5, s5, s4
	s_cmp_eq_u32 s6, 0
	s_cselect_b32 s21, ttmp9, s5
	s_cmp_ge_i32 s21, s20
	s_cbranch_scc1 .LBB8_37
; %bb.1:
	s_load_b256 s[4:11], s[0:1], 0x0
	v_mov_b32_e32 v2, 0
	s_wait_kmcnt 0x0
	s_clause 0x1
	global_load_u8 v1, v2, s[4:5]
	global_load_u16 v22, v2, s[6:7]
	s_load_b32 s1, s[0:1], 0x28
	s_bfe_i64 s[6:7], s[2:3], 0x200000
	v_dual_lshlrev_b32 v5, 5, v0 :: v_dual_lshlrev_b32 v24, 1, v0
	s_delay_alu instid0(VALU_DEP_1) | instskip(NEXT) | instid1(VALU_DEP_1)
	v_lshl_add_u32 v23, s21, 13, v5
	v_sub_nc_u32_e32 v25, 0, v23
	s_wait_kmcnt 0x0
	s_lshl_b32 s22, s1, 13
	s_wait_loadcnt 0x1
	v_readfirstlane_b32 s12, v1
	v_and_b32_e32 v26, 0xff, v1
	s_and_b64 s[4:5], s[12:13], 0xff
	s_delay_alu instid0(SALU_CYCLE_1) | instskip(SKIP_2) | instid1(VALU_DEP_1)
	v_cvt_f32_ubyte0_e32 v3, s4
	s_sub_nc_u64 s[14:15], 0, s[4:5]
	s_sub_co_i32 s23, 0, s4
	v_fmac_f32_e64 v3, 0x4f800000, 0
	s_delay_alu instid0(VALU_DEP_1) | instskip(SKIP_1) | instid1(TRANS32_DEP_1)
	v_rcp_f32_e32 v3, v3
	v_nop
	v_mul_f32_e32 v3, 0x5f7ffffc, v3
	s_delay_alu instid0(VALU_DEP_1) | instskip(NEXT) | instid1(VALU_DEP_1)
	v_mul_f32_e32 v4, 0x2f800000, v3
	v_trunc_f32_e32 v6, v4
	s_delay_alu instid0(VALU_DEP_1) | instskip(SKIP_1) | instid1(VALU_DEP_2)
	v_fmac_f32_e32 v3, 0xcf800000, v6
	v_cvt_u32_f32_e32 v5, v6
	v_cvt_u32_f32_e32 v4, v3
	s_branch .LBB8_3
.LBB8_2:                                ;   in Loop: Header=BB8_3 Depth=1
	s_wait_xcnt 0x0
	s_or_b32 exec_lo, exec_lo, s0
	v_subrev_nc_u32_e32 v25, s22, v25
	v_add_nc_u32_e32 v23, s22, v23
	s_add_co_i32 s21, s1, s21
	s_delay_alu instid0(SALU_CYCLE_1)
	s_cmp_ge_i32 s21, s20
	s_cbranch_scc1 .LBB8_37
.LBB8_3:                                ; =>This Loop Header: Depth=1
                                        ;     Child Loop BB8_19 Depth 2
                                        ;       Child Loop BB8_24 Depth 3
                                        ;       Child Loop BB8_28 Depth 3
	s_lshl_b32 s16, s21, 8
                                        ; implicit-def: $vgpr10_vgpr11
	s_mov_b32 s0, exec_lo
	v_add_nc_u32_e32 v6, s16, v0
	s_delay_alu instid0(VALU_DEP_1) | instskip(NEXT) | instid1(VALU_DEP_1)
	v_ashrrev_i32_e32 v7, 31, v6
	v_lshlrev_b64_e32 v[8:9], 5, v[6:7]
	s_delay_alu instid0(VALU_DEP_1) | instskip(NEXT) | instid1(VALU_DEP_1)
	v_mov_b32_e32 v3, v9
	v_cmpx_ne_u64_e32 0, v[2:3]
	s_xor_b32 s12, exec_lo, s0
	s_cbranch_execz .LBB8_5
; %bb.4:                                ;   in Loop: Header=BB8_3 Depth=1
	v_mul_u64_e32 v[10:11], s[14:15], v[4:5]
	v_dual_mov_b32 v15, v2 :: v_dual_mov_b32 v17, v2
	s_delay_alu instid0(VALU_DEP_2) | instskip(SKIP_1) | instid1(VALU_DEP_4)
	v_mul_hi_u32 v13, v4, v11
	v_mul_lo_u32 v12, v4, v11
	v_mul_hi_u32 v14, v4, v10
	v_mul_lo_u32 v1, v5, v10
	v_mul_hi_u32 v3, v5, v10
	v_mul_hi_u32 v16, v5, v11
	v_mul_lo_u32 v10, v5, v11
	v_add_nc_u64_e32 v[12:13], v[14:15], v[12:13]
	s_delay_alu instid0(VALU_DEP_1) | instskip(NEXT) | instid1(VALU_DEP_2)
	v_add_co_u32 v1, vcc_lo, v12, v1
	v_add_co_ci_u32_e32 v14, vcc_lo, v13, v3, vcc_lo
	v_add_co_ci_u32_e32 v11, vcc_lo, 0, v16, vcc_lo
	s_delay_alu instid0(VALU_DEP_1) | instskip(NEXT) | instid1(VALU_DEP_1)
	v_add_nc_u64_e32 v[10:11], v[14:15], v[10:11]
	v_add_co_u32 v10, vcc_lo, v4, v10
	s_delay_alu instid0(VALU_DEP_1) | instskip(NEXT) | instid1(VALU_DEP_1)
	v_add_co_ci_u32_e64 v11, null, v5, v11, vcc_lo
	v_mul_u64_e32 v[12:13], s[14:15], v[10:11]
	s_delay_alu instid0(VALU_DEP_1) | instskip(SKIP_1) | instid1(VALU_DEP_3)
	v_mul_hi_u32 v15, v10, v13
	v_mul_lo_u32 v14, v10, v13
	v_mul_hi_u32 v16, v10, v12
	v_mul_lo_u32 v1, v11, v12
	v_mul_hi_u32 v3, v11, v12
	v_mul_hi_u32 v18, v11, v13
	v_mul_lo_u32 v12, v11, v13
	v_add_nc_u64_e32 v[14:15], v[16:17], v[14:15]
	s_delay_alu instid0(VALU_DEP_1) | instskip(NEXT) | instid1(VALU_DEP_2)
	v_add_co_u32 v1, vcc_lo, v14, v1
	v_add_co_ci_u32_e32 v16, vcc_lo, v15, v3, vcc_lo
	v_add_co_ci_u32_e32 v13, vcc_lo, 0, v18, vcc_lo
	v_mov_b32_e32 v15, v2
	s_delay_alu instid0(VALU_DEP_2) | instskip(SKIP_1) | instid1(VALU_DEP_2)
	v_add_nc_u64_e32 v[12:13], v[16:17], v[12:13]
	v_mov_b32_e32 v16, v8
	v_add_co_u32 v10, vcc_lo, v10, v12
	s_delay_alu instid0(VALU_DEP_1) | instskip(SKIP_2) | instid1(VALU_DEP_3)
	v_add_co_ci_u32_e64 v14, null, v11, v13, vcc_lo
	v_dual_mov_b32 v12, v9 :: v_dual_mov_b32 v13, v2
	v_mov_b32_e32 v11, v2
	v_mul_u64_e32 v[16:17], v[16:17], v[14:15]
	s_delay_alu instid0(VALU_DEP_2) | instskip(SKIP_2) | instid1(VALU_DEP_1)
	v_mul_u64_e32 v[18:19], v[12:13], v[10:11]
	v_mul_u64_e32 v[12:13], v[12:13], v[14:15]
	v_mul_hi_u32 v10, v8, v10
	v_add_nc_u64_e32 v[10:11], v[10:11], v[16:17]
	s_delay_alu instid0(VALU_DEP_1) | instskip(NEXT) | instid1(VALU_DEP_2)
	v_add_co_u32 v1, vcc_lo, v10, v18
	v_add_co_ci_u32_e32 v14, vcc_lo, v11, v19, vcc_lo
	v_add_co_ci_u32_e32 v13, vcc_lo, 0, v13, vcc_lo
	s_delay_alu instid0(VALU_DEP_1) | instskip(NEXT) | instid1(VALU_DEP_1)
	v_add_nc_u64_e32 v[10:11], v[14:15], v[12:13]
	v_mul_u64_e32 v[12:13], s[4:5], v[10:11]
	s_delay_alu instid0(VALU_DEP_1) | instskip(NEXT) | instid1(VALU_DEP_1)
	v_sub_co_u32 v1, vcc_lo, v8, v12
	v_sub_co_ci_u32_e64 v3, null, v9, v13, vcc_lo
	s_delay_alu instid0(VALU_DEP_2) | instskip(NEXT) | instid1(VALU_DEP_1)
	v_sub_co_u32 v12, vcc_lo, v1, s4
	v_subrev_co_ci_u32_e64 v14, null, 0, v3, vcc_lo
	v_cmp_eq_u32_e64 s0, 0, v3
	s_delay_alu instid0(VALU_DEP_3) | instskip(SKIP_3) | instid1(VALU_DEP_2)
	v_cmp_le_u32_e32 vcc_lo, s4, v12
	v_add_nc_u64_e32 v[12:13], 2, v[10:11]
	v_cndmask_b32_e64 v15, 0, -1, vcc_lo
	v_cmp_eq_u32_e32 vcc_lo, 0, v14
	v_cndmask_b32_e32 v16, -1, v15, vcc_lo
	v_cmp_le_u32_e32 vcc_lo, s4, v1
	v_add_nc_u64_e32 v[14:15], 1, v[10:11]
	v_cndmask_b32_e64 v1, 0, -1, vcc_lo
	s_delay_alu instid0(VALU_DEP_4) | instskip(NEXT) | instid1(VALU_DEP_2)
	v_cmp_ne_u32_e32 vcc_lo, 0, v16
	v_dual_cndmask_b32 v1, -1, v1, s0 :: v_dual_cndmask_b32 v12, v14, v12, vcc_lo
	s_delay_alu instid0(VALU_DEP_4) | instskip(NEXT) | instid1(VALU_DEP_2)
	v_cndmask_b32_e32 v3, v15, v13, vcc_lo
	v_cmp_ne_u32_e32 vcc_lo, 0, v1
	s_delay_alu instid0(VALU_DEP_2)
	v_dual_cndmask_b32 v10, v10, v12 :: v_dual_cndmask_b32 v11, v11, v3
.LBB8_5:                                ;   in Loop: Header=BB8_3 Depth=1
	s_or_saveexec_b32 s0, s12
	v_cvt_f32_u32_e32 v1, s4
	s_xor_b32 exec_lo, exec_lo, s0
	s_cbranch_execz .LBB8_7
; %bb.6:                                ;   in Loop: Header=BB8_3 Depth=1
	s_delay_alu instid0(VALU_DEP_1) | instskip(SKIP_1) | instid1(TRANS32_DEP_1)
	v_rcp_iflag_f32_e32 v3, v1
	v_nop
	v_mul_f32_e32 v3, 0x4f7ffffe, v3
	s_delay_alu instid0(VALU_DEP_1) | instskip(NEXT) | instid1(VALU_DEP_1)
	v_cvt_u32_f32_e32 v3, v3
	v_mul_lo_u32 v10, s23, v3
	s_delay_alu instid0(VALU_DEP_1) | instskip(NEXT) | instid1(VALU_DEP_1)
	v_mul_hi_u32 v10, v3, v10
	v_add_nc_u32_e32 v3, v3, v10
	s_delay_alu instid0(VALU_DEP_1) | instskip(NEXT) | instid1(VALU_DEP_1)
	v_mul_hi_u32 v3, v8, v3
	v_mul_lo_u32 v10, v3, s4
	s_delay_alu instid0(VALU_DEP_1) | instskip(NEXT) | instid1(VALU_DEP_1)
	v_dual_add_nc_u32 v11, 1, v3 :: v_dual_sub_nc_u32 v10, v8, v10
	v_subrev_nc_u32_e32 v12, s4, v10
	v_cmp_le_u32_e32 vcc_lo, s4, v10
	s_delay_alu instid0(VALU_DEP_2) | instskip(NEXT) | instid1(VALU_DEP_1)
	v_dual_cndmask_b32 v10, v10, v12 :: v_dual_cndmask_b32 v3, v3, v11
	v_cmp_le_u32_e32 vcc_lo, s4, v10
	s_delay_alu instid0(VALU_DEP_2) | instskip(NEXT) | instid1(VALU_DEP_1)
	v_add_nc_u32_e32 v11, 1, v3
	v_dual_cndmask_b32 v10, v3, v11 :: v_dual_mov_b32 v11, v2
.LBB8_7:                                ;   in Loop: Header=BB8_3 Depth=1
	s_or_b32 exec_lo, exec_lo, s0
	v_add_nc_u64_e32 v[12:13], 32, v[8:9]
                                        ; implicit-def: $vgpr14_vgpr15
	s_mov_b32 s0, exec_lo
	s_delay_alu instid0(VALU_DEP_1) | instskip(NEXT) | instid1(VALU_DEP_1)
	v_mov_b32_e32 v3, v13
	v_cmpx_ne_u64_e32 0, v[2:3]
	s_xor_b32 s12, exec_lo, s0
	s_cbranch_execz .LBB8_9
; %bb.8:                                ;   in Loop: Header=BB8_3 Depth=1
	v_mul_u64_e32 v[14:15], s[14:15], v[4:5]
	v_dual_mov_b32 v19, v2 :: v_dual_mov_b32 v21, v2
	s_delay_alu instid0(VALU_DEP_2) | instskip(SKIP_1) | instid1(VALU_DEP_4)
	v_mul_hi_u32 v17, v4, v15
	v_mul_lo_u32 v16, v4, v15
	v_mul_hi_u32 v18, v4, v14
	v_mul_lo_u32 v3, v5, v14
	v_mul_hi_u32 v9, v5, v14
	v_mul_hi_u32 v20, v5, v15
	v_mul_lo_u32 v14, v5, v15
	v_add_nc_u64_e32 v[16:17], v[18:19], v[16:17]
	s_delay_alu instid0(VALU_DEP_1) | instskip(NEXT) | instid1(VALU_DEP_2)
	v_add_co_u32 v3, vcc_lo, v16, v3
	v_add_co_ci_u32_e32 v18, vcc_lo, v17, v9, vcc_lo
	v_add_co_ci_u32_e32 v15, vcc_lo, 0, v20, vcc_lo
	s_delay_alu instid0(VALU_DEP_1) | instskip(NEXT) | instid1(VALU_DEP_1)
	v_add_nc_u64_e32 v[14:15], v[18:19], v[14:15]
	v_add_co_u32 v14, vcc_lo, v4, v14
	s_delay_alu instid0(VALU_DEP_1) | instskip(NEXT) | instid1(VALU_DEP_1)
	v_add_co_ci_u32_e64 v15, null, v5, v15, vcc_lo
	v_mul_u64_e32 v[16:17], s[14:15], v[14:15]
	s_delay_alu instid0(VALU_DEP_1) | instskip(SKIP_1) | instid1(VALU_DEP_3)
	v_mul_hi_u32 v19, v14, v17
	v_mul_lo_u32 v18, v14, v17
	v_mul_hi_u32 v20, v14, v16
	v_mul_lo_u32 v3, v15, v16
	v_mul_hi_u32 v9, v15, v16
	v_mul_hi_u32 v27, v15, v17
	v_mul_lo_u32 v16, v15, v17
	v_add_nc_u64_e32 v[18:19], v[20:21], v[18:19]
	s_delay_alu instid0(VALU_DEP_1) | instskip(NEXT) | instid1(VALU_DEP_2)
	v_add_co_u32 v3, vcc_lo, v18, v3
	v_add_co_ci_u32_e32 v20, vcc_lo, v19, v9, vcc_lo
	v_add_co_ci_u32_e32 v17, vcc_lo, 0, v27, vcc_lo
	v_mov_b32_e32 v19, v2
	s_delay_alu instid0(VALU_DEP_2) | instskip(SKIP_1) | instid1(VALU_DEP_2)
	v_add_nc_u64_e32 v[16:17], v[20:21], v[16:17]
	v_mov_b32_e32 v20, v12
	v_add_co_u32 v14, vcc_lo, v14, v16
	s_delay_alu instid0(VALU_DEP_1) | instskip(SKIP_2) | instid1(VALU_DEP_3)
	v_add_co_ci_u32_e64 v18, null, v15, v17, vcc_lo
	v_dual_mov_b32 v16, v13 :: v_dual_mov_b32 v17, v2
	v_mov_b32_e32 v15, v2
	v_mul_u64_e32 v[20:21], v[20:21], v[18:19]
	s_delay_alu instid0(VALU_DEP_2) | instskip(SKIP_2) | instid1(VALU_DEP_1)
	v_mul_u64_e32 v[28:29], v[16:17], v[14:15]
	v_mul_u64_e32 v[16:17], v[16:17], v[18:19]
	v_mul_hi_u32 v14, v12, v14
	v_add_nc_u64_e32 v[14:15], v[14:15], v[20:21]
	s_delay_alu instid0(VALU_DEP_1) | instskip(NEXT) | instid1(VALU_DEP_2)
	v_add_co_u32 v3, vcc_lo, v14, v28
	v_add_co_ci_u32_e32 v18, vcc_lo, v15, v29, vcc_lo
	v_add_co_ci_u32_e32 v17, vcc_lo, 0, v17, vcc_lo
	s_delay_alu instid0(VALU_DEP_1) | instskip(NEXT) | instid1(VALU_DEP_1)
	v_add_nc_u64_e32 v[14:15], v[18:19], v[16:17]
	v_mul_u64_e32 v[16:17], s[4:5], v[14:15]
	s_delay_alu instid0(VALU_DEP_1) | instskip(NEXT) | instid1(VALU_DEP_1)
	v_sub_co_u32 v3, vcc_lo, v12, v16
	v_sub_co_ci_u32_e64 v9, null, v13, v17, vcc_lo
	s_delay_alu instid0(VALU_DEP_2) | instskip(NEXT) | instid1(VALU_DEP_1)
	v_sub_co_u32 v16, vcc_lo, v3, s4
	v_subrev_co_ci_u32_e64 v18, null, 0, v9, vcc_lo
	v_cmp_eq_u32_e64 s0, 0, v9
	s_delay_alu instid0(VALU_DEP_3) | instskip(SKIP_3) | instid1(VALU_DEP_2)
	v_cmp_le_u32_e32 vcc_lo, s4, v16
	v_add_nc_u64_e32 v[16:17], 2, v[14:15]
	v_cndmask_b32_e64 v19, 0, -1, vcc_lo
	v_cmp_eq_u32_e32 vcc_lo, 0, v18
	v_cndmask_b32_e32 v20, -1, v19, vcc_lo
	v_cmp_le_u32_e32 vcc_lo, s4, v3
	v_add_nc_u64_e32 v[18:19], 1, v[14:15]
	v_cndmask_b32_e64 v3, 0, -1, vcc_lo
	s_delay_alu instid0(VALU_DEP_4) | instskip(NEXT) | instid1(VALU_DEP_2)
	v_cmp_ne_u32_e32 vcc_lo, 0, v20
	v_dual_cndmask_b32 v3, -1, v3, s0 :: v_dual_cndmask_b32 v9, v19, v17, vcc_lo
	s_delay_alu instid0(VALU_DEP_4) | instskip(NEXT) | instid1(VALU_DEP_2)
	v_cndmask_b32_e32 v16, v18, v16, vcc_lo
	v_cmp_ne_u32_e32 vcc_lo, 0, v3
	s_delay_alu instid0(VALU_DEP_2)
	v_dual_cndmask_b32 v15, v15, v9 :: v_dual_cndmask_b32 v14, v14, v16
.LBB8_9:                                ;   in Loop: Header=BB8_3 Depth=1
	s_and_not1_saveexec_b32 s0, s12
	s_cbranch_execz .LBB8_11
; %bb.10:                               ;   in Loop: Header=BB8_3 Depth=1
	v_rcp_iflag_f32_e32 v3, v1
	v_nop
	s_delay_alu instid0(TRANS32_DEP_1) | instskip(NEXT) | instid1(VALU_DEP_1)
	v_mul_f32_e32 v3, 0x4f7ffffe, v3
	v_cvt_u32_f32_e32 v3, v3
	s_delay_alu instid0(VALU_DEP_1) | instskip(NEXT) | instid1(VALU_DEP_1)
	v_mul_lo_u32 v9, s23, v3
	v_mul_hi_u32 v9, v3, v9
	s_delay_alu instid0(VALU_DEP_1) | instskip(NEXT) | instid1(VALU_DEP_1)
	v_add_nc_u32_e32 v3, v3, v9
	v_mul_hi_u32 v3, v12, v3
	s_delay_alu instid0(VALU_DEP_1) | instskip(NEXT) | instid1(VALU_DEP_1)
	v_mul_lo_u32 v9, v3, s4
	v_dual_add_nc_u32 v14, 1, v3 :: v_dual_sub_nc_u32 v9, v12, v9
	s_delay_alu instid0(VALU_DEP_1) | instskip(SKIP_1) | instid1(VALU_DEP_2)
	v_subrev_nc_u32_e32 v15, s4, v9
	v_cmp_le_u32_e32 vcc_lo, s4, v9
	v_dual_cndmask_b32 v9, v9, v15, vcc_lo :: v_dual_mov_b32 v15, v2
	s_delay_alu instid0(VALU_DEP_4) | instskip(NEXT) | instid1(VALU_DEP_2)
	v_cndmask_b32_e32 v3, v3, v14, vcc_lo
	v_cmp_le_u32_e32 vcc_lo, s4, v9
	s_delay_alu instid0(VALU_DEP_2) | instskip(NEXT) | instid1(VALU_DEP_1)
	v_add_nc_u32_e32 v14, 1, v3
	v_cndmask_b32_e32 v14, v3, v14, vcc_lo
.LBB8_11:                               ;   in Loop: Header=BB8_3 Depth=1
	s_or_b32 exec_lo, exec_lo, s0
	s_ashr_i32 s17, s16, 31
	s_delay_alu instid0(SALU_CYCLE_1) | instskip(NEXT) | instid1(SALU_CYCLE_1)
	s_lshl_b64 s[18:19], s[16:17], 5
	s_and_b64 s[24:25], s[18:19], 0xffffffff00000000
	s_delay_alu instid0(SALU_CYCLE_1)
	s_cmp_lg_u64 s[24:25], 0
	s_cbranch_scc0 .LBB8_35
; %bb.12:                               ;   in Loop: Header=BB8_3 Depth=1
	v_mul_u64_e32 v[16:17], s[14:15], v[4:5]
	v_dual_mov_b32 v21, v2 :: v_dual_mov_b32 v29, v2
	s_delay_alu instid0(VALU_DEP_2) | instskip(SKIP_1) | instid1(VALU_DEP_4)
	v_mul_hi_u32 v19, v4, v17
	v_mul_lo_u32 v18, v4, v17
	v_mul_hi_u32 v20, v4, v16
	v_mul_lo_u32 v3, v5, v16
	v_mul_hi_u32 v9, v5, v16
	v_mul_hi_u32 v27, v5, v17
	v_mul_lo_u32 v16, v5, v17
	v_add_nc_u64_e32 v[18:19], v[20:21], v[18:19]
	s_delay_alu instid0(VALU_DEP_1) | instskip(NEXT) | instid1(VALU_DEP_2)
	v_add_co_u32 v3, vcc_lo, v18, v3
	v_add_co_ci_u32_e32 v20, vcc_lo, v19, v9, vcc_lo
	v_add_co_ci_u32_e32 v17, vcc_lo, 0, v27, vcc_lo
	s_delay_alu instid0(VALU_DEP_1) | instskip(NEXT) | instid1(VALU_DEP_1)
	v_add_nc_u64_e32 v[16:17], v[20:21], v[16:17]
	v_add_co_u32 v16, vcc_lo, v4, v16
	s_delay_alu instid0(VALU_DEP_1) | instskip(NEXT) | instid1(VALU_DEP_1)
	v_add_co_ci_u32_e64 v17, null, v5, v17, vcc_lo
	v_mul_u64_e32 v[18:19], s[14:15], v[16:17]
	s_delay_alu instid0(VALU_DEP_1) | instskip(SKIP_1) | instid1(VALU_DEP_3)
	v_mul_hi_u32 v21, v16, v19
	v_mul_lo_u32 v20, v16, v19
	v_mul_hi_u32 v28, v16, v18
	v_mul_lo_u32 v3, v17, v18
	v_mul_hi_u32 v9, v17, v18
	v_mul_hi_u32 v27, v17, v19
	v_mul_lo_u32 v18, v17, v19
	v_add_nc_u64_e32 v[20:21], v[28:29], v[20:21]
	s_delay_alu instid0(VALU_DEP_1) | instskip(NEXT) | instid1(VALU_DEP_2)
	v_add_co_u32 v3, vcc_lo, v20, v3
	v_add_co_ci_u32_e32 v28, vcc_lo, v21, v9, vcc_lo
	v_add_co_ci_u32_e32 v19, vcc_lo, 0, v27, vcc_lo
	s_delay_alu instid0(VALU_DEP_1) | instskip(NEXT) | instid1(VALU_DEP_1)
	v_add_nc_u64_e32 v[18:19], v[28:29], v[18:19]
	v_add_co_u32 v3, vcc_lo, v16, v18
	s_delay_alu instid0(VALU_DEP_1) | instskip(SKIP_1) | instid1(VALU_DEP_3)
	v_add_co_ci_u32_e64 v9, null, v17, v19, vcc_lo
	v_mov_b32_e32 v19, v2
	v_mul_hi_u32 v18, s18, v3
	v_mul_lo_u32 v21, s19, v3
	s_delay_alu instid0(VALU_DEP_4) | instskip(SKIP_4) | instid1(VALU_DEP_4)
	v_mul_hi_u32 v17, s18, v9
	v_mul_lo_u32 v16, s18, v9
	v_mul_hi_u32 v3, s19, v3
	v_mul_hi_u32 v27, s19, v9
	v_mul_lo_u32 v20, s19, v9
	v_add_nc_u64_e32 v[16:17], v[18:19], v[16:17]
	s_delay_alu instid0(VALU_DEP_1) | instskip(NEXT) | instid1(VALU_DEP_2)
	v_add_co_u32 v9, vcc_lo, v16, v21
	v_add_co_ci_u32_e32 v18, vcc_lo, v17, v3, vcc_lo
	v_add_co_ci_u32_e32 v21, vcc_lo, 0, v27, vcc_lo
	s_delay_alu instid0(VALU_DEP_1) | instskip(NEXT) | instid1(VALU_DEP_1)
	v_add_nc_u64_e32 v[16:17], v[18:19], v[20:21]
	v_mul_u64_e32 v[18:19], s[4:5], v[16:17]
	s_delay_alu instid0(VALU_DEP_1) | instskip(NEXT) | instid1(VALU_DEP_1)
	v_sub_co_u32 v3, vcc_lo, s18, v18
	v_sub_co_ci_u32_e64 v9, null, s19, v19, vcc_lo
	s_delay_alu instid0(VALU_DEP_2) | instskip(NEXT) | instid1(VALU_DEP_1)
	v_sub_co_u32 v18, vcc_lo, v3, s4
	v_subrev_co_ci_u32_e64 v20, null, 0, v9, vcc_lo
	v_cmp_eq_u32_e64 s0, 0, v9
	s_delay_alu instid0(VALU_DEP_3) | instskip(SKIP_3) | instid1(VALU_DEP_2)
	v_cmp_le_u32_e32 vcc_lo, s4, v18
	v_add_nc_u64_e32 v[18:19], 1, v[16:17]
	v_cndmask_b32_e64 v21, 0, -1, vcc_lo
	v_cmp_eq_u32_e32 vcc_lo, 0, v20
	v_cndmask_b32_e32 v27, -1, v21, vcc_lo
	v_cmp_le_u32_e32 vcc_lo, s4, v3
	v_add_nc_u64_e32 v[20:21], 2, v[16:17]
	v_cndmask_b32_e64 v3, 0, -1, vcc_lo
	s_delay_alu instid0(VALU_DEP_4) | instskip(NEXT) | instid1(VALU_DEP_2)
	v_cmp_ne_u32_e32 vcc_lo, 0, v27
	v_dual_cndmask_b32 v3, -1, v3, s0 :: v_dual_cndmask_b32 v9, v18, v20, vcc_lo
	s_delay_alu instid0(VALU_DEP_4) | instskip(NEXT) | instid1(VALU_DEP_2)
	v_cndmask_b32_e32 v18, v19, v21, vcc_lo
	v_cmp_ne_u32_e32 vcc_lo, 0, v3
	s_delay_alu instid0(VALU_DEP_2)
	v_dual_cndmask_b32 v17, v17, v18 :: v_dual_cndmask_b32 v16, v16, v9
	s_cbranch_execnz .LBB8_14
.LBB8_13:                               ;   in Loop: Header=BB8_3 Depth=1
	v_rcp_iflag_f32_e32 v3, v1
	v_nop
	s_delay_alu instid0(TRANS32_DEP_1) | instskip(NEXT) | instid1(VALU_DEP_1)
	v_mul_f32_e32 v3, 0x4f7ffffe, v3
	v_cvt_u32_f32_e32 v3, v3
	s_delay_alu instid0(VALU_DEP_1) | instskip(SKIP_1) | instid1(SALU_CYCLE_1)
	v_readfirstlane_b32 s0, v3
	s_mul_i32 s12, s23, s0
	s_mul_hi_u32 s12, s0, s12
	s_delay_alu instid0(SALU_CYCLE_1) | instskip(NEXT) | instid1(SALU_CYCLE_1)
	s_add_co_i32 s0, s0, s12
	s_mul_hi_u32 s0, s18, s0
	s_delay_alu instid0(SALU_CYCLE_1) | instskip(SKIP_2) | instid1(SALU_CYCLE_1)
	s_mul_i32 s12, s0, s4
	s_add_co_i32 s17, s0, 1
	s_sub_co_i32 s12, s18, s12
	s_sub_co_i32 s18, s12, s4
	s_cmp_ge_u32 s12, s4
	s_cselect_b32 s0, s17, s0
	s_cselect_b32 s12, s18, s12
	s_add_co_i32 s17, s0, 1
	s_cmp_ge_u32 s12, s4
	s_cselect_b32 s12, s17, s0
	s_delay_alu instid0(SALU_CYCLE_1)
	v_mov_b64_e32 v[16:17], s[12:13]
.LBB8_14:                               ;   in Loop: Header=BB8_3 Depth=1
	s_addk_co_i32 s16, 0x100
	s_delay_alu instid0(SALU_CYCLE_1) | instskip(NEXT) | instid1(SALU_CYCLE_1)
	s_ashr_i32 s17, s16, 31
	s_lshl_b64 s[16:17], s[16:17], 5
	s_delay_alu instid0(SALU_CYCLE_1) | instskip(NEXT) | instid1(SALU_CYCLE_1)
	s_and_b64 s[18:19], s[16:17], 0xffffffff00000000
	s_cmp_lg_u64 s[18:19], 0
	s_cbranch_scc0 .LBB8_36
; %bb.15:                               ;   in Loop: Header=BB8_3 Depth=1
	v_mul_u64_e32 v[18:19], s[14:15], v[4:5]
	v_dual_mov_b32 v29, v2 :: v_dual_mov_b32 v31, v2
	s_delay_alu instid0(VALU_DEP_2) | instskip(SKIP_1) | instid1(VALU_DEP_4)
	v_mul_hi_u32 v21, v4, v19
	v_mul_lo_u32 v20, v4, v19
	v_mul_hi_u32 v28, v4, v18
	v_mul_lo_u32 v3, v5, v18
	v_mul_hi_u32 v9, v5, v18
	v_mul_hi_u32 v27, v5, v19
	v_mul_lo_u32 v18, v5, v19
	v_add_nc_u64_e32 v[20:21], v[28:29], v[20:21]
	s_delay_alu instid0(VALU_DEP_1) | instskip(NEXT) | instid1(VALU_DEP_2)
	v_add_co_u32 v3, vcc_lo, v20, v3
	v_add_co_ci_u32_e32 v28, vcc_lo, v21, v9, vcc_lo
	v_add_co_ci_u32_e32 v19, vcc_lo, 0, v27, vcc_lo
	s_delay_alu instid0(VALU_DEP_1) | instskip(NEXT) | instid1(VALU_DEP_1)
	v_add_nc_u64_e32 v[18:19], v[28:29], v[18:19]
	v_add_co_u32 v18, vcc_lo, v4, v18
	s_delay_alu instid0(VALU_DEP_1) | instskip(NEXT) | instid1(VALU_DEP_1)
	v_add_co_ci_u32_e64 v19, null, v5, v19, vcc_lo
	v_mul_u64_e32 v[20:21], s[14:15], v[18:19]
	s_delay_alu instid0(VALU_DEP_1) | instskip(SKIP_1) | instid1(VALU_DEP_3)
	v_mul_hi_u32 v29, v18, v21
	v_mul_lo_u32 v28, v18, v21
	v_mul_hi_u32 v30, v18, v20
	v_mul_lo_u32 v3, v19, v20
	v_mul_hi_u32 v9, v19, v20
	v_mul_hi_u32 v27, v19, v21
	v_mul_lo_u32 v20, v19, v21
	v_add_nc_u64_e32 v[28:29], v[30:31], v[28:29]
	s_delay_alu instid0(VALU_DEP_1) | instskip(NEXT) | instid1(VALU_DEP_2)
	v_add_co_u32 v3, vcc_lo, v28, v3
	v_add_co_ci_u32_e32 v30, vcc_lo, v29, v9, vcc_lo
	v_add_co_ci_u32_e32 v21, vcc_lo, 0, v27, vcc_lo
	s_delay_alu instid0(VALU_DEP_1) | instskip(NEXT) | instid1(VALU_DEP_1)
	v_add_nc_u64_e32 v[20:21], v[30:31], v[20:21]
	v_add_co_u32 v3, vcc_lo, v18, v20
	s_delay_alu instid0(VALU_DEP_1) | instskip(SKIP_1) | instid1(VALU_DEP_3)
	v_add_co_ci_u32_e64 v9, null, v19, v21, vcc_lo
	v_mov_b32_e32 v21, v2
	v_mul_hi_u32 v20, s16, v3
	v_mul_lo_u32 v27, s17, v3
	s_delay_alu instid0(VALU_DEP_4) | instskip(SKIP_4) | instid1(VALU_DEP_4)
	v_mul_hi_u32 v19, s16, v9
	v_mul_lo_u32 v18, s16, v9
	v_mul_hi_u32 v3, s17, v3
	v_mul_hi_u32 v29, s17, v9
	v_mul_lo_u32 v28, s17, v9
	v_add_nc_u64_e32 v[18:19], v[20:21], v[18:19]
	s_delay_alu instid0(VALU_DEP_1) | instskip(NEXT) | instid1(VALU_DEP_2)
	v_add_co_u32 v9, vcc_lo, v18, v27
	v_add_co_ci_u32_e32 v20, vcc_lo, v19, v3, vcc_lo
	v_add_co_ci_u32_e32 v29, vcc_lo, 0, v29, vcc_lo
	s_delay_alu instid0(VALU_DEP_1) | instskip(NEXT) | instid1(VALU_DEP_1)
	v_add_nc_u64_e32 v[18:19], v[20:21], v[28:29]
	v_mul_u64_e32 v[20:21], s[4:5], v[18:19]
	s_delay_alu instid0(VALU_DEP_1) | instskip(NEXT) | instid1(VALU_DEP_1)
	v_sub_co_u32 v3, vcc_lo, s16, v20
	v_sub_co_ci_u32_e64 v9, null, s17, v21, vcc_lo
	s_delay_alu instid0(VALU_DEP_2) | instskip(NEXT) | instid1(VALU_DEP_1)
	v_sub_co_u32 v20, vcc_lo, v3, s4
	v_subrev_co_ci_u32_e64 v27, null, 0, v9, vcc_lo
	v_cmp_eq_u32_e64 s0, 0, v9
	s_delay_alu instid0(VALU_DEP_3) | instskip(SKIP_3) | instid1(VALU_DEP_2)
	v_cmp_le_u32_e32 vcc_lo, s4, v20
	v_add_nc_u64_e32 v[20:21], 1, v[18:19]
	v_cndmask_b32_e64 v28, 0, -1, vcc_lo
	v_cmp_eq_u32_e32 vcc_lo, 0, v27
	v_cndmask_b32_e32 v27, -1, v28, vcc_lo
	v_cmp_le_u32_e32 vcc_lo, s4, v3
	v_add_nc_u64_e32 v[28:29], 2, v[18:19]
	v_cndmask_b32_e64 v3, 0, -1, vcc_lo
	s_delay_alu instid0(VALU_DEP_4) | instskip(NEXT) | instid1(VALU_DEP_2)
	v_cmp_ne_u32_e32 vcc_lo, 0, v27
	v_dual_cndmask_b32 v3, -1, v3, s0 :: v_dual_cndmask_b32 v9, v20, v28, vcc_lo
	s_delay_alu instid0(VALU_DEP_4) | instskip(NEXT) | instid1(VALU_DEP_2)
	v_cndmask_b32_e32 v20, v21, v29, vcc_lo
	v_cmp_ne_u32_e32 vcc_lo, 0, v3
	s_delay_alu instid0(VALU_DEP_2)
	v_dual_cndmask_b32 v19, v19, v20 :: v_dual_cndmask_b32 v18, v18, v9
	s_cbranch_execnz .LBB8_17
.LBB8_16:                               ;   in Loop: Header=BB8_3 Depth=1
	v_rcp_iflag_f32_e32 v1, v1
	v_nop
	s_delay_alu instid0(TRANS32_DEP_1) | instskip(NEXT) | instid1(VALU_DEP_1)
	v_mul_f32_e32 v1, 0x4f7ffffe, v1
	v_cvt_u32_f32_e32 v1, v1
	s_delay_alu instid0(VALU_DEP_1) | instskip(SKIP_1) | instid1(SALU_CYCLE_1)
	v_readfirstlane_b32 s0, v1
	s_mul_i32 s12, s23, s0
	s_mul_hi_u32 s12, s0, s12
	s_delay_alu instid0(SALU_CYCLE_1) | instskip(NEXT) | instid1(SALU_CYCLE_1)
	s_add_co_i32 s0, s0, s12
	s_mul_hi_u32 s0, s16, s0
	s_delay_alu instid0(SALU_CYCLE_1) | instskip(SKIP_2) | instid1(SALU_CYCLE_1)
	s_mul_i32 s12, s0, s4
	s_add_co_i32 s18, s0, 1
	s_sub_co_i32 s12, s16, s12
	s_sub_co_i32 s19, s12, s4
	s_cmp_ge_u32 s12, s4
	s_cselect_b32 s0, s18, s0
	s_cselect_b32 s12, s19, s12
	s_add_co_i32 s18, s0, 1
	s_cmp_ge_u32 s12, s4
	s_cselect_b32 s12, s18, s0
	s_delay_alu instid0(SALU_CYCLE_1)
	v_mov_b64_e32 v[18:19], s[12:13]
.LBB8_17:                               ;   in Loop: Header=BB8_3 Depth=1
	s_delay_alu instid0(VALU_DEP_1)
	v_mul_u64_e32 v[20:21], s[4:5], v[18:19]
	v_mov_b32_e32 v29, s13
	v_and_b32_e32 v16, 0xffffff00, v16
	v_min_u64 v[10:11], s[6:7], v[10:11]
	v_mov_b32_e32 v3, 0
	v_sub_nc_u64_e32 v[20:21], s[16:17], v[20:21]
	s_delay_alu instid0(VALU_DEP_1) | instskip(SKIP_2) | instid1(VALU_DEP_1)
	v_cmp_ne_u64_e32 vcc_lo, 0, v[20:21]
	v_mov_b32_e32 v21, v2
	v_cndmask_b32_e64 v28, 0, 1, vcc_lo
	v_add_nc_u64_e32 v[18:19], v[18:19], v[28:29]
	s_delay_alu instid0(VALU_DEP_1) | instskip(NEXT) | instid1(VALU_DEP_1)
	v_and_b32_e32 v20, 0xff, v18
	v_cmp_eq_u64_e32 vcc_lo, 0, v[20:21]
	v_cndmask_b32_e64 v20, 0x100, 0, vcc_lo
	s_delay_alu instid0(VALU_DEP_1) | instskip(SKIP_1) | instid1(VALU_DEP_2)
	v_add_nc_u64_e32 v[20:21], v[20:21], v[18:19]
	v_min_u64 v[18:19], s[6:7], v[16:17]
	v_and_b32_e32 v20, 0xffffff00, v20
	s_delay_alu instid0(VALU_DEP_1) | instskip(NEXT) | instid1(VALU_DEP_1)
	v_min_u64 v[16:17], s[6:7], v[20:21]
	v_cmp_ge_i32_e32 vcc_lo, v18, v16
	s_cbranch_vccnz .LBB8_33
; %bb.18:                               ;   in Loop: Header=BB8_3 Depth=1
	v_mul_u64_e32 v[20:21], s[4:5], v[14:15]
	v_dual_mov_b32 v3, 0 :: v_dual_mov_b32 v1, v8
	s_delay_alu instid0(VALU_DEP_2) | instskip(NEXT) | instid1(VALU_DEP_1)
	v_sub_nc_u64_e32 v[12:13], v[12:13], v[20:21]
	v_cmp_ne_u64_e32 vcc_lo, 0, v[12:13]
	v_mov_b32_e32 v13, s13
	v_cndmask_b32_e64 v12, 0, 1, vcc_lo
	s_delay_alu instid0(VALU_DEP_1) | instskip(NEXT) | instid1(VALU_DEP_1)
	v_add_nc_u64_e32 v[12:13], v[14:15], v[12:13]
	v_min_u64 v[12:13], s[6:7], v[12:13]
.LBB8_19:                               ;   Parent Loop BB8_3 Depth=1
                                        ; =>  This Loop Header: Depth=2
                                        ;       Child Loop BB8_24 Depth 3
                                        ;       Child Loop BB8_28 Depth 3
	s_delay_alu instid0(VALU_DEP_1)
	v_add_nc_u32_e32 v14, v18, v0
	s_mov_b32 s0, exec_lo
	s_wait_loadcnt 0x0
	s_barrier_signal -1
	s_barrier_wait -1
	v_ashrrev_i32_e32 v15, 31, v14
	s_delay_alu instid0(VALU_DEP_1)
	v_cmpx_gt_u64_e64 s[2:3], v[14:15]
	s_cbranch_execz .LBB8_21
; %bb.20:                               ;   in Loop: Header=BB8_19 Depth=2
	v_lshl_add_u64 v[14:15], v[14:15], 1, s[10:11]
	global_load_u16 v9, v[14:15], off
	s_wait_loadcnt 0x0
	v_sub_nc_u16 v9, v9, v22
	ds_store_b16 v24, v9
.LBB8_21:                               ;   in Loop: Header=BB8_19 Depth=2
	s_wait_xcnt 0x0
	s_or_b32 exec_lo, exec_lo, s0
	v_add_nc_u32_e32 v9, 0x100, v18
	v_max_i32_e32 v14, v10, v18
	s_wait_dscnt 0x0
	s_barrier_signal -1
	s_barrier_wait -1
	v_min_i32_e32 v11, v12, v9
	s_mov_b32 s0, exec_lo
	s_delay_alu instid0(VALU_DEP_1)
	v_cmpx_gt_i32_e64 v11, v14
	s_xor_b32 s12, exec_lo, s0
	s_cbranch_execz .LBB8_31
; %bb.22:                               ;   in Loop: Header=BB8_19 Depth=2
	v_sub_nc_u32_e32 v13, v11, v14
	s_mov_b32 s17, -1
	s_mov_b32 s16, exec_lo
	s_delay_alu instid0(VALU_DEP_1)
	v_cmpx_lt_u32_e32 1, v13
	s_cbranch_execz .LBB8_26
; %bb.23:                               ;   in Loop: Header=BB8_19 Depth=2
	v_dual_add_nc_u32 v15, 1, v14 :: v_dual_bitop2_b32 v17, -2, v13 bitop3:0x40
	v_mov_b32_e32 v19, 0
	s_mov_b32 s17, 0
	s_mov_b32 s18, 0
	s_delay_alu instid0(VALU_DEP_2)
	v_mov_b32_e32 v27, v17
	v_mov_b64_e32 v[20:21], v[14:15]
.LBB8_24:                               ;   Parent Loop BB8_3 Depth=1
                                        ;     Parent Loop BB8_19 Depth=2
                                        ; =>    This Inner Loop Header: Depth=3
	s_delay_alu instid0(VALU_DEP_1) | instskip(NEXT) | instid1(VALU_DEP_2)
	v_mul_lo_u32 v28, v21, v26
	v_mul_lo_u32 v29, v20, v26
	v_add_nc_u32_e32 v15, s18, v14
	s_add_co_i32 s18, s18, 2
	s_delay_alu instid0(VALU_DEP_3) | instskip(NEXT) | instid1(VALU_DEP_2)
	v_dual_add_nc_u32 v20, 2, v20 :: v_dual_sub_nc_u32 v28, v28, v1
	v_dual_sub_nc_u32 v15, v15, v18 :: v_dual_sub_nc_u32 v29, v29, v8
	s_delay_alu instid0(VALU_DEP_1) | instskip(NEXT) | instid1(VALU_DEP_2)
	v_dual_sub_nc_u32 v30, 0, v28 :: v_dual_lshlrev_b32 v15, 1, v15
	v_cmp_lt_i32_e32 vcc_lo, 0, v29
	v_cmp_lt_i32_e64 s0, 0, v28
	ds_load_b32 v15, v15
	v_sub_nc_u32_e32 v31, 0, v29
	s_wait_dscnt 0x0
	v_and_b32_e32 v32, 0xffff, v15
	s_delay_alu instid0(VALU_DEP_1) | instskip(NEXT) | instid1(VALU_DEP_1)
	v_dual_lshrrev_b32 v15, 16, v15 :: v_dual_lshlrev_b32 v33, v29, v32
	v_dual_lshlrev_b32 v34, v28, v15 :: v_dual_lshrrev_b32 v15, v30, v15
	v_dual_lshrrev_b32 v30, v31, v32 :: v_dual_add_nc_u32 v27, -2, v27
	s_delay_alu instid0(VALU_DEP_1) | instskip(NEXT) | instid1(VALU_DEP_2)
	v_dual_cndmask_b32 v15, v15, v34, s0 :: v_dual_cndmask_b32 v28, v30, v33, vcc_lo
	v_cmp_eq_u32_e32 vcc_lo, 0, v27
	s_delay_alu instid0(VALU_DEP_2) | instskip(NEXT) | instid1(VALU_DEP_3)
	v_dual_add_nc_u32 v21, 2, v21 :: v_dual_bitop2_b32 v19, v15, v19 bitop3:0x54
	v_or_b32_e32 v3, v28, v3
	s_or_b32 s17, vcc_lo, s17
	s_delay_alu instid0(SALU_CYCLE_1)
	s_and_not1_b32 exec_lo, exec_lo, s17
	s_cbranch_execnz .LBB8_24
; %bb.25:                               ;   in Loop: Header=BB8_19 Depth=2
	s_or_b32 exec_lo, exec_lo, s17
	v_cmp_ne_u32_e32 vcc_lo, v13, v17
	v_dual_add_nc_u32 v14, v14, v17 :: v_dual_bitop2_b32 v3, v3, v19 bitop3:0x54
	s_or_not1_b32 s17, vcc_lo, exec_lo
.LBB8_26:                               ;   in Loop: Header=BB8_19 Depth=2
	s_or_b32 exec_lo, exec_lo, s16
	s_and_saveexec_b32 s0, s17
	s_cbranch_execz .LBB8_30
; %bb.27:                               ;   in Loop: Header=BB8_19 Depth=2
	v_mul_lo_u32 v15, v26, v14
	s_mov_b32 s16, 0
	s_delay_alu instid0(VALU_DEP_1)
	v_dual_add_nc_u32 v13, v25, v15 :: v_dual_sub_nc_u32 v15, v23, v15
.LBB8_28:                               ;   Parent Loop BB8_3 Depth=1
                                        ;     Parent Loop BB8_19 Depth=2
                                        ; =>    This Inner Loop Header: Depth=3
	v_sub_nc_u32_e32 v17, v14, v18
	s_delay_alu instid0(VALU_DEP_2) | instskip(NEXT) | instid1(VALU_DEP_2)
	v_cmp_lt_i32_e32 vcc_lo, 0, v13
	v_dual_add_nc_u32 v14, 1, v14 :: v_dual_lshlrev_b32 v17, 1, v17
	ds_load_u16 v17, v17
	s_wait_dscnt 0x0
	v_dual_lshlrev_b32 v19, v13, v17 :: v_dual_lshrrev_b32 v17, v15, v17
	v_dual_add_nc_u32 v13, v13, v26 :: v_dual_sub_nc_u32 v15, v15, v26
	s_delay_alu instid0(VALU_DEP_2) | instskip(SKIP_1) | instid1(VALU_DEP_2)
	v_cndmask_b32_e32 v17, v17, v19, vcc_lo
	v_cmp_ge_i32_e32 vcc_lo, v14, v11
	v_or_b32_e32 v3, v17, v3
	s_or_b32 s16, vcc_lo, s16
	s_delay_alu instid0(SALU_CYCLE_1)
	s_and_not1_b32 exec_lo, exec_lo, s16
	s_cbranch_execnz .LBB8_28
; %bb.29:                               ;   in Loop: Header=BB8_19 Depth=2
	s_or_b32 exec_lo, exec_lo, s16
.LBB8_30:                               ;   in Loop: Header=BB8_19 Depth=2
	s_delay_alu instid0(SALU_CYCLE_1)
	s_or_b32 exec_lo, exec_lo, s0
.LBB8_31:                               ;   in Loop: Header=BB8_19 Depth=2
	s_delay_alu instid0(SALU_CYCLE_1)
	s_or_b32 exec_lo, exec_lo, s12
	v_cmp_lt_i32_e32 vcc_lo, v9, v16
	s_cbranch_vccz .LBB8_33
; %bb.32:                               ;   in Loop: Header=BB8_19 Depth=2
	v_mov_b32_e32 v18, v9
	s_branch .LBB8_19
.LBB8_33:                               ;   in Loop: Header=BB8_3 Depth=1
	v_ashrrev_i32_e32 v11, 31, v10
	s_mov_b32 s0, exec_lo
	s_delay_alu instid0(VALU_DEP_1)
	v_cmpx_gt_u64_e64 s[2:3], v[10:11]
	s_cbranch_execz .LBB8_2
; %bb.34:                               ;   in Loop: Header=BB8_3 Depth=1
	v_lshl_add_u64 v[6:7], v[6:7], 2, s[8:9]
	global_store_b32 v[6:7], v3, off
	s_branch .LBB8_2
.LBB8_35:                               ;   in Loop: Header=BB8_3 Depth=1
                                        ; implicit-def: $vgpr16_vgpr17
	s_branch .LBB8_13
.LBB8_36:                               ;   in Loop: Header=BB8_3 Depth=1
                                        ; implicit-def: $vgpr18_vgpr19
	s_branch .LBB8_16
.LBB8_37:
	s_endpgm
	.section	.rodata,"a",@progbits
	.p2align	6, 0x0
	.amdhsa_kernel _Z13bitPackKernelIsjEvPKhPKT_PT0_S4_PKm
		.amdhsa_group_segment_fixed_size 512
		.amdhsa_private_segment_fixed_size 0
		.amdhsa_kernarg_size 296
		.amdhsa_user_sgpr_count 2
		.amdhsa_user_sgpr_dispatch_ptr 0
		.amdhsa_user_sgpr_queue_ptr 0
		.amdhsa_user_sgpr_kernarg_segment_ptr 1
		.amdhsa_user_sgpr_dispatch_id 0
		.amdhsa_user_sgpr_kernarg_preload_length 0
		.amdhsa_user_sgpr_kernarg_preload_offset 0
		.amdhsa_user_sgpr_private_segment_size 0
		.amdhsa_wavefront_size32 1
		.amdhsa_uses_dynamic_stack 0
		.amdhsa_enable_private_segment 0
		.amdhsa_system_sgpr_workgroup_id_x 1
		.amdhsa_system_sgpr_workgroup_id_y 0
		.amdhsa_system_sgpr_workgroup_id_z 0
		.amdhsa_system_sgpr_workgroup_info 0
		.amdhsa_system_vgpr_workitem_id 0
		.amdhsa_next_free_vgpr 35
		.amdhsa_next_free_sgpr 26
		.amdhsa_named_barrier_count 0
		.amdhsa_reserve_vcc 1
		.amdhsa_float_round_mode_32 0
		.amdhsa_float_round_mode_16_64 0
		.amdhsa_float_denorm_mode_32 3
		.amdhsa_float_denorm_mode_16_64 3
		.amdhsa_fp16_overflow 0
		.amdhsa_memory_ordered 1
		.amdhsa_forward_progress 1
		.amdhsa_inst_pref_size 30
		.amdhsa_round_robin_scheduling 0
		.amdhsa_exception_fp_ieee_invalid_op 0
		.amdhsa_exception_fp_denorm_src 0
		.amdhsa_exception_fp_ieee_div_zero 0
		.amdhsa_exception_fp_ieee_overflow 0
		.amdhsa_exception_fp_ieee_underflow 0
		.amdhsa_exception_fp_ieee_inexact 0
		.amdhsa_exception_int_div_zero 0
	.end_amdhsa_kernel
	.section	.text._Z13bitPackKernelIsjEvPKhPKT_PT0_S4_PKm,"axG",@progbits,_Z13bitPackKernelIsjEvPKhPKT_PT0_S4_PKm,comdat
.Lfunc_end8:
	.size	_Z13bitPackKernelIsjEvPKhPKT_PT0_S4_PKm, .Lfunc_end8-_Z13bitPackKernelIsjEvPKhPKT_PT0_S4_PKm
                                        ; -- End function
	.set _Z13bitPackKernelIsjEvPKhPKT_PT0_S4_PKm.num_vgpr, 35
	.set _Z13bitPackKernelIsjEvPKhPKT_PT0_S4_PKm.num_agpr, 0
	.set _Z13bitPackKernelIsjEvPKhPKT_PT0_S4_PKm.numbered_sgpr, 26
	.set _Z13bitPackKernelIsjEvPKhPKT_PT0_S4_PKm.num_named_barrier, 0
	.set _Z13bitPackKernelIsjEvPKhPKT_PT0_S4_PKm.private_seg_size, 0
	.set _Z13bitPackKernelIsjEvPKhPKT_PT0_S4_PKm.uses_vcc, 1
	.set _Z13bitPackKernelIsjEvPKhPKT_PT0_S4_PKm.uses_flat_scratch, 0
	.set _Z13bitPackKernelIsjEvPKhPKT_PT0_S4_PKm.has_dyn_sized_stack, 0
	.set _Z13bitPackKernelIsjEvPKhPKT_PT0_S4_PKm.has_recursion, 0
	.set _Z13bitPackKernelIsjEvPKhPKT_PT0_S4_PKm.has_indirect_call, 0
	.section	.AMDGPU.csdata,"",@progbits
; Kernel info:
; codeLenInByte = 3732
; TotalNumSgprs: 28
; NumVgprs: 35
; ScratchSize: 0
; MemoryBound: 0
; FloatMode: 240
; IeeeMode: 1
; LDSByteSize: 512 bytes/workgroup (compile time only)
; SGPRBlocks: 0
; VGPRBlocks: 2
; NumSGPRsForWavesPerEU: 28
; NumVGPRsForWavesPerEU: 35
; NamedBarCnt: 0
; Occupancy: 16
; WaveLimiterHint : 0
; COMPUTE_PGM_RSRC2:SCRATCH_EN: 0
; COMPUTE_PGM_RSRC2:USER_SGPR: 2
; COMPUTE_PGM_RSRC2:TRAP_HANDLER: 0
; COMPUTE_PGM_RSRC2:TGID_X_EN: 1
; COMPUTE_PGM_RSRC2:TGID_Y_EN: 0
; COMPUTE_PGM_RSRC2:TGID_Z_EN: 0
; COMPUTE_PGM_RSRC2:TIDIG_COMP_CNT: 0
	.section	.text._Z23bitPackConfigScanKernelIttEvPT_S1_PKT0_PKm,"axG",@progbits,_Z23bitPackConfigScanKernelIttEvPT_S1_PKT0_PKm,comdat
	.protected	_Z23bitPackConfigScanKernelIttEvPT_S1_PKT0_PKm ; -- Begin function _Z23bitPackConfigScanKernelIttEvPT_S1_PKT0_PKm
	.globl	_Z23bitPackConfigScanKernelIttEvPT_S1_PKT0_PKm
	.p2align	8
	.type	_Z23bitPackConfigScanKernelIttEvPT_S1_PKT0_PKm,@function
_Z23bitPackConfigScanKernelIttEvPT_S1_PKT0_PKm: ; @_Z23bitPackConfigScanKernelIttEvPT_S1_PKT0_PKm
; %bb.0:
	s_load_b256 s[4:11], s[0:1], 0x0
	s_wait_kmcnt 0x0
	s_load_b64 s[2:3], s[10:11], 0x0
	s_wait_kmcnt 0x0
	s_and_b64 s[10:11], s[2:3], 0xff
	s_lshr_b64 s[12:13], s[2:3], 8
	s_cmp_lg_u64 s[10:11], 0
	s_cselect_b32 s3, -1, 0
	s_delay_alu instid0(SALU_CYCLE_1)
	s_cmp_lg_u32 s3, 0
	s_add_co_ci_u32 s10, s12, 0
	s_bfe_u32 s3, ttmp6, 0x4000c
	s_and_b32 s11, ttmp6, 15
	s_add_co_i32 s3, s3, 1
	s_getreg_b32 s12, hwreg(HW_REG_IB_STS2, 6, 4)
	s_mul_i32 s3, ttmp9, s3
	s_delay_alu instid0(SALU_CYCLE_1) | instskip(SKIP_2) | instid1(SALU_CYCLE_1)
	s_add_co_i32 s11, s11, s3
	s_cmp_eq_u32 s12, 0
	s_cselect_b32 s3, ttmp9, s11
	s_cmp_ge_u32 s3, s10
	s_cbranch_scc1 .LBB9_82
; %bb.1:
	s_cmp_lt_i32 s3, s10
	s_cbranch_scc1 .LBB9_83
; %bb.2:
	s_cbranch_execz .LBB9_84
; %bb.3:
	v_dual_mov_b32 v1, 0 :: v_dual_mov_b32 v2, 0
	s_mov_b32 s1, 0
.LBB9_4:
	v_lshlrev_b32_e32 v3, 1, v0
	v_cmp_lt_u32_e32 vcc_lo, 0x7f, v0
	ds_store_b16 v3, v1 offset:512
	ds_store_b16 v3, v2
	v_add_nc_u32_e32 v1, 0xffffff00, v3
	s_wait_dscnt 0x0
	s_barrier_signal -1
	s_barrier_wait -1
	s_and_saveexec_b32 s0, vcc_lo
	s_delay_alu instid0(SALU_CYCLE_1)
	s_xor_b32 s2, exec_lo, s0
	s_cbranch_execz .LBB9_8
; %bb.5:
	s_mov_b32 s8, exec_lo
	v_cmpx_gt_i32_e64 s1, v0
	s_cbranch_execz .LBB9_7
; %bb.6:
	ds_load_u16 v2, v1
	ds_load_u16 v4, v3
	s_wait_dscnt 0x0
	v_max_u16 v2, v2, v4
	ds_store_b16 v1, v2
.LBB9_7:
	s_or_b32 exec_lo, exec_lo, s8
.LBB9_8:
	s_or_saveexec_b32 s2, s2
	v_add_nc_u32_e32 v2, 0x200, v3
	s_xor_b32 exec_lo, exec_lo, s2
	s_cbranch_execz .LBB9_12
; %bb.9:
	v_or_b32_e32 v4, 0x80, v0
	s_mov_b32 s8, exec_lo
	s_delay_alu instid0(VALU_DEP_1)
	v_cmpx_gt_i32_e64 s1, v4
	s_cbranch_execz .LBB9_11
; %bb.10:
	ds_load_u16 v4, v2
	ds_load_u16 v5, v2 offset:256
	s_wait_dscnt 0x0
	v_min_u16 v4, v4, v5
	ds_store_b16 v2, v4
.LBB9_11:
	s_or_b32 exec_lo, exec_lo, s8
.LBB9_12:
	s_delay_alu instid0(SALU_CYCLE_1) | instskip(SKIP_4) | instid1(SALU_CYCLE_1)
	s_or_b32 exec_lo, exec_lo, s2
	s_wait_dscnt 0x0
	s_barrier_signal -1
	s_barrier_wait -1
	s_and_saveexec_b32 s0, vcc_lo
	s_xor_b32 s2, exec_lo, s0
	s_cbranch_execz .LBB9_17
; %bb.13:
	s_mov_b32 s8, exec_lo
	v_cmpx_gt_u32_e32 0xc0, v0
	s_cbranch_execz .LBB9_16
; %bb.14:
	v_subrev_nc_u32_e32 v4, 64, v0
	s_delay_alu instid0(VALU_DEP_1)
	v_cmp_gt_i32_e64 s0, s1, v4
	s_and_b32 exec_lo, exec_lo, s0
	s_cbranch_execz .LBB9_16
; %bb.15:
	v_add_nc_u32_e32 v4, 0xffffff80, v3
	ds_load_u16 v5, v1
	ds_load_u16 v4, v4
	s_wait_dscnt 0x0
	v_max_u16 v4, v5, v4
	ds_store_b16 v1, v4
.LBB9_16:
	s_or_b32 exec_lo, exec_lo, s8
.LBB9_17:
	s_and_not1_saveexec_b32 s2, s2
	s_cbranch_execz .LBB9_22
; %bb.18:
	s_mov_b32 s8, exec_lo
	v_cmpx_gt_u32_e32 64, v0
	s_cbranch_execz .LBB9_21
; %bb.19:
	v_or_b32_e32 v4, 64, v0
	s_delay_alu instid0(VALU_DEP_1)
	v_cmp_gt_i32_e64 s0, s1, v4
	s_and_b32 exec_lo, exec_lo, s0
	s_cbranch_execz .LBB9_21
; %bb.20:
	ds_load_u16 v4, v2
	ds_load_u16 v5, v2 offset:128
	s_wait_dscnt 0x0
	v_min_u16 v4, v4, v5
	ds_store_b16 v2, v4
.LBB9_21:
	s_or_b32 exec_lo, exec_lo, s8
.LBB9_22:
	s_delay_alu instid0(SALU_CYCLE_1) | instskip(SKIP_4) | instid1(SALU_CYCLE_1)
	s_or_b32 exec_lo, exec_lo, s2
	s_wait_dscnt 0x0
	s_barrier_signal -1
	s_barrier_wait -1
	s_and_saveexec_b32 s0, vcc_lo
	s_xor_b32 s2, exec_lo, s0
	s_cbranch_execz .LBB9_27
; %bb.23:
	s_mov_b32 s8, exec_lo
	v_cmpx_gt_u32_e32 0xa0, v0
	s_cbranch_execz .LBB9_26
; %bb.24:
	v_add_nc_u32_e32 v4, 0xffffffa0, v0
	s_delay_alu instid0(VALU_DEP_1)
	v_cmp_gt_i32_e64 s0, s1, v4
	s_and_b32 exec_lo, exec_lo, s0
	s_cbranch_execz .LBB9_26
; %bb.25:
	v_add_nc_u32_e32 v4, 0xffffff40, v3
	ds_load_u16 v5, v1
	ds_load_u16 v4, v4
	s_wait_dscnt 0x0
	v_max_u16 v4, v5, v4
	ds_store_b16 v1, v4
.LBB9_26:
	s_or_b32 exec_lo, exec_lo, s8
.LBB9_27:
	s_and_not1_saveexec_b32 s2, s2
	s_cbranch_execz .LBB9_32
; %bb.28:
	s_mov_b32 s8, exec_lo
	v_cmpx_gt_u32_e32 32, v0
	s_cbranch_execz .LBB9_31
; %bb.29:
	v_or_b32_e32 v4, 32, v0
	s_delay_alu instid0(VALU_DEP_1)
	v_cmp_gt_i32_e64 s0, s1, v4
	s_and_b32 exec_lo, exec_lo, s0
	s_cbranch_execz .LBB9_31
; %bb.30:
	ds_load_u16 v4, v2
	ds_load_u16 v5, v2 offset:64
	s_wait_dscnt 0x0
	v_min_u16 v4, v4, v5
	ds_store_b16 v2, v4
.LBB9_31:
	s_or_b32 exec_lo, exec_lo, s8
.LBB9_32:
	s_delay_alu instid0(SALU_CYCLE_1) | instskip(SKIP_4) | instid1(SALU_CYCLE_1)
	s_or_b32 exec_lo, exec_lo, s2
	s_wait_dscnt 0x0
	s_barrier_signal -1
	s_barrier_wait -1
	s_and_saveexec_b32 s0, vcc_lo
	s_xor_b32 s2, exec_lo, s0
	s_cbranch_execz .LBB9_37
; %bb.33:
	s_mov_b32 s8, exec_lo
	v_cmpx_gt_u32_e32 0x90, v0
	s_cbranch_execz .LBB9_36
; %bb.34:
	v_add_nc_u32_e32 v4, 0xffffff90, v0
	s_delay_alu instid0(VALU_DEP_1)
	v_cmp_gt_i32_e64 s0, s1, v4
	s_and_b32 exec_lo, exec_lo, s0
	s_cbranch_execz .LBB9_36
; %bb.35:
	v_add_nc_u32_e32 v4, 0xffffff20, v3
	ds_load_u16 v5, v1
	ds_load_u16 v4, v4
	s_wait_dscnt 0x0
	v_max_u16 v4, v5, v4
	ds_store_b16 v1, v4
.LBB9_36:
	s_or_b32 exec_lo, exec_lo, s8
.LBB9_37:
	;; [unrolled: 49-line block ×5, first 2 shown]
	s_and_not1_saveexec_b32 s2, s2
	s_cbranch_execz .LBB9_72
; %bb.68:
	s_mov_b32 s8, exec_lo
	v_cmpx_gt_u32_e32 2, v0
	s_cbranch_execz .LBB9_71
; %bb.69:
	v_or_b32_e32 v3, 2, v0
	s_delay_alu instid0(VALU_DEP_1)
	v_cmp_gt_i32_e64 s0, s1, v3
	s_and_b32 exec_lo, exec_lo, s0
	s_cbranch_execz .LBB9_71
; %bb.70:
	ds_load_u16 v3, v2
	ds_load_u16 v4, v2 offset:4
	s_wait_dscnt 0x0
	v_min_u16 v3, v3, v4
	ds_store_b16 v2, v3
.LBB9_71:
	s_or_b32 exec_lo, exec_lo, s8
.LBB9_72:
	s_delay_alu instid0(SALU_CYCLE_1)
	s_or_b32 exec_lo, exec_lo, s2
	s_cmp_gt_i32 s1, 1
	s_wait_dscnt 0x0
	s_cselect_b32 s0, -1, 0
	s_barrier_signal -1
	s_barrier_wait -1
	s_and_saveexec_b32 s1, vcc_lo
	s_delay_alu instid0(SALU_CYCLE_1)
	s_xor_b32 s1, exec_lo, s1
	s_cbranch_execz .LBB9_76
; %bb.73:
	v_cmp_eq_u32_e32 vcc_lo, 0x80, v0
	s_and_b32 s8, vcc_lo, s0
	s_delay_alu instid0(SALU_CYCLE_1)
	s_and_saveexec_b32 s2, s8
	s_cbranch_execz .LBB9_75
; %bb.74:
	v_mov_b32_e32 v2, 0
	ds_load_u16 v3, v1
	ds_load_u16 v2, v2 offset:2
	s_wait_dscnt 0x0
	v_max_u16 v2, v3, v2
	ds_store_b16 v1, v2
.LBB9_75:
	s_or_b32 exec_lo, exec_lo, s2
                                        ; implicit-def: $vgpr2
.LBB9_76:
	s_and_not1_saveexec_b32 s1, s1
	s_cbranch_execz .LBB9_80
; %bb.77:
	v_cmp_eq_u32_e32 vcc_lo, 0, v0
	s_and_b32 s2, vcc_lo, s0
	s_delay_alu instid0(SALU_CYCLE_1)
	s_and_saveexec_b32 s0, s2
	s_cbranch_execz .LBB9_79
; %bb.78:
	v_mov_b32_e32 v1, 0
	ds_load_u16 v3, v2
	ds_load_u16 v1, v1 offset:514
	s_wait_dscnt 0x0
	v_min_u16 v1, v3, v1
	ds_store_b16 v2, v1
.LBB9_79:
	s_or_b32 exec_lo, exec_lo, s0
.LBB9_80:
	s_delay_alu instid0(SALU_CYCLE_1)
	s_or_b32 exec_lo, exec_lo, s1
	s_wait_dscnt 0x0
	s_barrier_signal -1
	s_barrier_wait -1
	s_mov_b32 s0, exec_lo
	v_cmpx_eq_u32_e32 0, v0
	s_cbranch_execz .LBB9_82
; %bb.81:
	v_dual_mov_b32 v0, 0 :: v_dual_mov_b32 v2, s3
	ds_load_u16 v1, v0 offset:512
	ds_load_u16 v0, v0
	s_wait_dscnt 0x1
	global_store_b16 v2, v1, s[4:5] scale_offset
	s_wait_dscnt 0x0
	global_store_b16 v2, v0, s[6:7] scale_offset
.LBB9_82:
	s_endpgm
.LBB9_83:
.LBB9_84:
	s_load_b32 s0, s[0:1], 0x20
	s_wait_xcnt 0x0
	s_lshl_b32 s1, s3, 8
	v_dual_mov_b32 v1, 0 :: v_dual_mov_b32 v2, 0
	v_add_nc_u32_e32 v3, s1, v0
	s_mov_b32 s11, 0
	s_sub_co_i32 s2, s2, s1
	s_mov_b32 s1, 0
	s_wait_kmcnt 0x0
	s_lshl_b32 s12, s0, 8
	s_branch .LBB9_86
.LBB9_85:                               ;   in Loop: Header=BB9_86 Depth=1
	s_or_b32 exec_lo, exec_lo, s14
	s_add_co_i32 s11, s11, s0
	v_add_nc_u32_e32 v3, s12, v3
	s_max_i32 s1, s1, s13
	s_add_co_i32 s13, s3, s11
	s_sub_co_i32 s2, s2, s12
	s_cmp_ge_i32 s13, s10
	s_cbranch_scc1 .LBB9_4
.LBB9_86:                               ; =>This Inner Loop Header: Depth=1
	s_min_i32 s13, s2, 0x100
	s_mov_b32 s14, exec_lo
	v_cmpx_gt_u32_e64 s13, v0
	s_cbranch_execz .LBB9_85
; %bb.87:                               ;   in Loop: Header=BB9_86 Depth=1
	global_load_u16 v4, v3, s[8:9] scale_offset
	s_cmp_eq_u32 s11, 0
	s_cselect_b32 vcc_lo, -1, 0
	s_wait_loadcnt 0x0
	v_max_u16 v2, v4, v2
	v_min_u16 v1, v4, v1
	s_delay_alu instid0(VALU_DEP_1)
	v_dual_cndmask_b32 v2, v2, v4 :: v_dual_cndmask_b32 v1, v1, v4
	s_branch .LBB9_85
	.section	.rodata,"a",@progbits
	.p2align	6, 0x0
	.amdhsa_kernel _Z23bitPackConfigScanKernelIttEvPT_S1_PKT0_PKm
		.amdhsa_group_segment_fixed_size 1024
		.amdhsa_private_segment_fixed_size 0
		.amdhsa_kernarg_size 288
		.amdhsa_user_sgpr_count 2
		.amdhsa_user_sgpr_dispatch_ptr 0
		.amdhsa_user_sgpr_queue_ptr 0
		.amdhsa_user_sgpr_kernarg_segment_ptr 1
		.amdhsa_user_sgpr_dispatch_id 0
		.amdhsa_user_sgpr_kernarg_preload_length 0
		.amdhsa_user_sgpr_kernarg_preload_offset 0
		.amdhsa_user_sgpr_private_segment_size 0
		.amdhsa_wavefront_size32 1
		.amdhsa_uses_dynamic_stack 0
		.amdhsa_enable_private_segment 0
		.amdhsa_system_sgpr_workgroup_id_x 1
		.amdhsa_system_sgpr_workgroup_id_y 0
		.amdhsa_system_sgpr_workgroup_id_z 0
		.amdhsa_system_sgpr_workgroup_info 0
		.amdhsa_system_vgpr_workitem_id 0
		.amdhsa_next_free_vgpr 6
		.amdhsa_next_free_sgpr 15
		.amdhsa_named_barrier_count 0
		.amdhsa_reserve_vcc 1
		.amdhsa_float_round_mode_32 0
		.amdhsa_float_round_mode_16_64 0
		.amdhsa_float_denorm_mode_32 3
		.amdhsa_float_denorm_mode_16_64 3
		.amdhsa_fp16_overflow 0
		.amdhsa_memory_ordered 1
		.amdhsa_forward_progress 1
		.amdhsa_inst_pref_size 16
		.amdhsa_round_robin_scheduling 0
		.amdhsa_exception_fp_ieee_invalid_op 0
		.amdhsa_exception_fp_denorm_src 0
		.amdhsa_exception_fp_ieee_div_zero 0
		.amdhsa_exception_fp_ieee_overflow 0
		.amdhsa_exception_fp_ieee_underflow 0
		.amdhsa_exception_fp_ieee_inexact 0
		.amdhsa_exception_int_div_zero 0
	.end_amdhsa_kernel
	.section	.text._Z23bitPackConfigScanKernelIttEvPT_S1_PKT0_PKm,"axG",@progbits,_Z23bitPackConfigScanKernelIttEvPT_S1_PKT0_PKm,comdat
.Lfunc_end9:
	.size	_Z23bitPackConfigScanKernelIttEvPT_S1_PKT0_PKm, .Lfunc_end9-_Z23bitPackConfigScanKernelIttEvPT_S1_PKT0_PKm
                                        ; -- End function
	.set _Z23bitPackConfigScanKernelIttEvPT_S1_PKT0_PKm.num_vgpr, 6
	.set _Z23bitPackConfigScanKernelIttEvPT_S1_PKT0_PKm.num_agpr, 0
	.set _Z23bitPackConfigScanKernelIttEvPT_S1_PKT0_PKm.numbered_sgpr, 15
	.set _Z23bitPackConfigScanKernelIttEvPT_S1_PKT0_PKm.num_named_barrier, 0
	.set _Z23bitPackConfigScanKernelIttEvPT_S1_PKT0_PKm.private_seg_size, 0
	.set _Z23bitPackConfigScanKernelIttEvPT_S1_PKT0_PKm.uses_vcc, 1
	.set _Z23bitPackConfigScanKernelIttEvPT_S1_PKT0_PKm.uses_flat_scratch, 0
	.set _Z23bitPackConfigScanKernelIttEvPT_S1_PKT0_PKm.has_dyn_sized_stack, 0
	.set _Z23bitPackConfigScanKernelIttEvPT_S1_PKT0_PKm.has_recursion, 0
	.set _Z23bitPackConfigScanKernelIttEvPT_S1_PKT0_PKm.has_indirect_call, 0
	.section	.AMDGPU.csdata,"",@progbits
; Kernel info:
; codeLenInByte = 2024
; TotalNumSgprs: 17
; NumVgprs: 6
; ScratchSize: 0
; MemoryBound: 0
; FloatMode: 240
; IeeeMode: 1
; LDSByteSize: 1024 bytes/workgroup (compile time only)
; SGPRBlocks: 0
; VGPRBlocks: 0
; NumSGPRsForWavesPerEU: 17
; NumVGPRsForWavesPerEU: 6
; NamedBarCnt: 0
; Occupancy: 16
; WaveLimiterHint : 0
; COMPUTE_PGM_RSRC2:SCRATCH_EN: 0
; COMPUTE_PGM_RSRC2:USER_SGPR: 2
; COMPUTE_PGM_RSRC2:TRAP_HANDLER: 0
; COMPUTE_PGM_RSRC2:TGID_X_EN: 1
; COMPUTE_PGM_RSRC2:TGID_Y_EN: 0
; COMPUTE_PGM_RSRC2:TGID_Z_EN: 0
; COMPUTE_PGM_RSRC2:TIDIG_COMP_CNT: 0
	.section	.text._Z27bitPackConfigFinalizeKernelIttEvPKT_S2_PhPT0_PKm,"axG",@progbits,_Z27bitPackConfigFinalizeKernelIttEvPKT_S2_PhPT0_PKm,comdat
	.protected	_Z27bitPackConfigFinalizeKernelIttEvPKT_S2_PhPT0_PKm ; -- Begin function _Z27bitPackConfigFinalizeKernelIttEvPKT_S2_PhPT0_PKm
	.globl	_Z27bitPackConfigFinalizeKernelIttEvPKT_S2_PhPT0_PKm
	.p2align	8
	.type	_Z27bitPackConfigFinalizeKernelIttEvPKT_S2_PhPT0_PKm,@function
_Z27bitPackConfigFinalizeKernelIttEvPKT_S2_PhPT0_PKm: ; @_Z27bitPackConfigFinalizeKernelIttEvPKT_S2_PhPT0_PKm
; %bb.0:
	s_load_b64 s[2:3], s[0:1], 0x20
	s_wait_kmcnt 0x0
	s_load_b64 s[2:3], s[2:3], 0x0
	s_wait_kmcnt 0x0
	s_and_b64 s[4:5], s[2:3], 0xff
	s_lshr_b64 s[2:3], s[2:3], 8
	s_cmp_lg_u64 s[4:5], 0
	s_mov_b32 s4, 0
	s_cselect_b32 s5, -1, 0
	v_mov_b32_e32 v3, s4
	v_cndmask_b32_e64 v2, 0, 1, s5
	s_load_b256 s[4:11], s[0:1], 0x0
	s_wait_xcnt 0x0
	s_mov_b32 s1, exec_lo
	s_delay_alu instid0(VALU_DEP_1) | instskip(NEXT) | instid1(VALU_DEP_1)
	v_add_nc_u64_e32 v[2:3], s[2:3], v[2:3]
	v_min_u64 v[4:5], 0x1000, v[2:3]
	s_delay_alu instid0(VALU_DEP_1)
	v_cmpx_lt_u32_e64 v0, v4
	s_cbranch_execz .LBB10_6
; %bb.1:
	s_wait_kmcnt 0x0
	s_clause 0x1
	global_load_u16 v1, v0, s[4:5] scale_offset
	global_load_u16 v5, v0, s[6:7] scale_offset
	v_add_nc_u32_e32 v10, 0x100, v0
	s_mov_b32 s2, exec_lo
	s_wait_xcnt 0x0
	s_delay_alu instid0(VALU_DEP_1)
	v_cmpx_lt_u32_e64 v10, v4
	s_cbranch_execz .LBB10_5
; %bb.2:
	v_dual_mov_b32 v7, 0 :: v_dual_lshlrev_b32 v6, 1, v0
	s_mov_b32 s3, 0
	s_delay_alu instid0(VALU_DEP_1) | instskip(NEXT) | instid1(VALU_DEP_1)
	v_add_nc_u64_e32 v[8:9], 0x200, v[6:7]
	v_add_nc_u64_e32 v[6:7], s[4:5], v[8:9]
	;; [unrolled: 1-line block ×3, first 2 shown]
.LBB10_3:                               ; =>This Inner Loop Header: Depth=1
	global_load_u16 v11, v[6:7], off
	global_load_u16 v12, v[8:9], off
	v_add_nc_u32_e32 v13, 0x100, v10
	v_cmp_lt_u32_e32 vcc_lo, 0xeff, v10
	s_wait_xcnt 0x1
	v_add_nc_u64_e32 v[6:7], 0x200, v[6:7]
	s_wait_xcnt 0x0
	v_add_nc_u64_e32 v[8:9], 0x200, v[8:9]
	v_cmp_ge_u32_e64 s0, v13, v4
	v_mov_b32_e32 v10, v13
	s_or_b32 s0, vcc_lo, s0
	s_delay_alu instid0(SALU_CYCLE_1) | instskip(NEXT) | instid1(SALU_CYCLE_1)
	s_and_b32 s0, exec_lo, s0
	s_or_b32 s3, s0, s3
	s_wait_loadcnt 0x1
	v_min_u16 v1, v11, v1
	s_wait_loadcnt 0x0
	v_max_u16 v5, v12, v5
	s_and_not1_b32 exec_lo, exec_lo, s3
	s_cbranch_execnz .LBB10_3
; %bb.4:
	s_or_b32 exec_lo, exec_lo, s3
.LBB10_5:
	s_delay_alu instid0(SALU_CYCLE_1)
	s_or_b32 exec_lo, exec_lo, s2
	v_lshlrev_b32_e32 v6, 1, v0
	s_wait_loadcnt 0x1
	ds_store_b16 v6, v1 offset:512
	s_wait_loadcnt 0x0
	ds_store_b16 v6, v5
.LBB10_6:
	s_or_b32 exec_lo, exec_lo, s1
	v_lshlrev_b32_e32 v6, 1, v0
	v_min_u32_e32 v5, 0x100, v4
	v_cmp_lt_u32_e32 vcc_lo, 0x7f, v0
	s_wait_dscnt 0x0
	s_barrier_signal -1
	v_add_nc_u32_e32 v1, 0xffffff00, v6
	s_barrier_wait -1
	s_and_saveexec_b32 s0, vcc_lo
	s_delay_alu instid0(SALU_CYCLE_1)
	s_xor_b32 s1, exec_lo, s0
	s_cbranch_execz .LBB10_10
; %bb.7:
	s_mov_b32 s2, exec_lo
	v_cmpx_lt_u32_e64 v0, v5
	s_cbranch_execz .LBB10_9
; %bb.8:
	ds_load_u16 v4, v1
	ds_load_u16 v7, v6
	s_wait_dscnt 0x0
	v_max_u16 v4, v4, v7
	ds_store_b16 v1, v4
.LBB10_9:
	s_or_b32 exec_lo, exec_lo, s2
.LBB10_10:
	s_or_saveexec_b32 s1, s1
	v_add_nc_u32_e32 v4, 0x200, v6
	s_xor_b32 exec_lo, exec_lo, s1
	s_cbranch_execz .LBB10_14
; %bb.11:
	v_or_b32_e32 v7, 0x80, v0
	s_mov_b32 s2, exec_lo
	s_delay_alu instid0(VALU_DEP_1)
	v_cmpx_lt_u32_e64 v7, v5
	s_cbranch_execz .LBB10_13
; %bb.12:
	ds_load_u16 v7, v4
	ds_load_u16 v8, v4 offset:256
	s_wait_dscnt 0x0
	v_min_u16 v7, v7, v8
	ds_store_b16 v4, v7
.LBB10_13:
	s_or_b32 exec_lo, exec_lo, s2
.LBB10_14:
	s_delay_alu instid0(SALU_CYCLE_1) | instskip(SKIP_4) | instid1(SALU_CYCLE_1)
	s_or_b32 exec_lo, exec_lo, s1
	s_wait_dscnt 0x0
	s_barrier_signal -1
	s_barrier_wait -1
	s_and_saveexec_b32 s0, vcc_lo
	s_xor_b32 s1, exec_lo, s0
	s_cbranch_execz .LBB10_19
; %bb.15:
	s_mov_b32 s2, exec_lo
	v_cmpx_gt_u32_e32 0xc0, v0
	s_cbranch_execz .LBB10_18
; %bb.16:
	v_subrev_nc_u32_e32 v7, 64, v0
	s_delay_alu instid0(VALU_DEP_1)
	v_cmp_lt_u32_e64 s0, v7, v5
	s_and_b32 exec_lo, exec_lo, s0
	s_cbranch_execz .LBB10_18
; %bb.17:
	v_add_nc_u32_e32 v7, 0xffffff80, v6
	ds_load_u16 v8, v1
	ds_load_u16 v7, v7
	s_wait_dscnt 0x0
	v_max_u16 v7, v8, v7
	ds_store_b16 v1, v7
.LBB10_18:
	s_or_b32 exec_lo, exec_lo, s2
.LBB10_19:
	s_and_not1_saveexec_b32 s1, s1
	s_cbranch_execz .LBB10_24
; %bb.20:
	s_mov_b32 s2, exec_lo
	v_cmpx_gt_u32_e32 64, v0
	s_cbranch_execz .LBB10_23
; %bb.21:
	v_or_b32_e32 v7, 64, v0
	s_delay_alu instid0(VALU_DEP_1)
	v_cmp_lt_u32_e64 s0, v7, v5
	s_and_b32 exec_lo, exec_lo, s0
	s_cbranch_execz .LBB10_23
; %bb.22:
	ds_load_u16 v7, v4
	ds_load_u16 v8, v4 offset:128
	s_wait_dscnt 0x0
	v_min_u16 v7, v7, v8
	ds_store_b16 v4, v7
.LBB10_23:
	s_or_b32 exec_lo, exec_lo, s2
.LBB10_24:
	s_delay_alu instid0(SALU_CYCLE_1) | instskip(SKIP_4) | instid1(SALU_CYCLE_1)
	s_or_b32 exec_lo, exec_lo, s1
	s_wait_dscnt 0x0
	s_barrier_signal -1
	s_barrier_wait -1
	s_and_saveexec_b32 s0, vcc_lo
	s_xor_b32 s1, exec_lo, s0
	s_cbranch_execz .LBB10_29
; %bb.25:
	s_mov_b32 s2, exec_lo
	v_cmpx_gt_u32_e32 0xa0, v0
	s_cbranch_execz .LBB10_28
; %bb.26:
	v_add_nc_u32_e32 v7, 0xffffffa0, v0
	s_delay_alu instid0(VALU_DEP_1)
	v_cmp_lt_u32_e64 s0, v7, v5
	s_and_b32 exec_lo, exec_lo, s0
	s_cbranch_execz .LBB10_28
; %bb.27:
	v_add_nc_u32_e32 v7, 0xffffff40, v6
	ds_load_u16 v8, v1
	ds_load_u16 v7, v7
	s_wait_dscnt 0x0
	v_max_u16 v7, v8, v7
	ds_store_b16 v1, v7
.LBB10_28:
	s_or_b32 exec_lo, exec_lo, s2
.LBB10_29:
	s_and_not1_saveexec_b32 s1, s1
	s_cbranch_execz .LBB10_34
; %bb.30:
	s_mov_b32 s2, exec_lo
	v_cmpx_gt_u32_e32 32, v0
	s_cbranch_execz .LBB10_33
; %bb.31:
	v_or_b32_e32 v7, 32, v0
	s_delay_alu instid0(VALU_DEP_1)
	v_cmp_lt_u32_e64 s0, v7, v5
	s_and_b32 exec_lo, exec_lo, s0
	s_cbranch_execz .LBB10_33
; %bb.32:
	ds_load_u16 v7, v4
	ds_load_u16 v8, v4 offset:64
	s_wait_dscnt 0x0
	v_min_u16 v7, v7, v8
	ds_store_b16 v4, v7
.LBB10_33:
	s_or_b32 exec_lo, exec_lo, s2
.LBB10_34:
	s_delay_alu instid0(SALU_CYCLE_1) | instskip(SKIP_4) | instid1(SALU_CYCLE_1)
	s_or_b32 exec_lo, exec_lo, s1
	s_wait_dscnt 0x0
	s_barrier_signal -1
	s_barrier_wait -1
	s_and_saveexec_b32 s0, vcc_lo
	s_xor_b32 s1, exec_lo, s0
	s_cbranch_execz .LBB10_39
; %bb.35:
	s_mov_b32 s2, exec_lo
	v_cmpx_gt_u32_e32 0x90, v0
	s_cbranch_execz .LBB10_38
; %bb.36:
	v_add_nc_u32_e32 v7, 0xffffff90, v0
	s_delay_alu instid0(VALU_DEP_1)
	v_cmp_lt_u32_e64 s0, v7, v5
	s_and_b32 exec_lo, exec_lo, s0
	s_cbranch_execz .LBB10_38
; %bb.37:
	v_add_nc_u32_e32 v7, 0xffffff20, v6
	ds_load_u16 v8, v1
	ds_load_u16 v7, v7
	s_wait_dscnt 0x0
	v_max_u16 v7, v8, v7
	ds_store_b16 v1, v7
.LBB10_38:
	s_or_b32 exec_lo, exec_lo, s2
.LBB10_39:
	s_and_not1_saveexec_b32 s1, s1
	s_cbranch_execz .LBB10_44
; %bb.40:
	s_mov_b32 s2, exec_lo
	v_cmpx_gt_u32_e32 16, v0
	s_cbranch_execz .LBB10_43
; %bb.41:
	v_or_b32_e32 v7, 16, v0
	s_delay_alu instid0(VALU_DEP_1)
	v_cmp_lt_u32_e64 s0, v7, v5
	s_and_b32 exec_lo, exec_lo, s0
	s_cbranch_execz .LBB10_43
; %bb.42:
	ds_load_u16 v7, v4
	ds_load_u16 v8, v4 offset:32
	s_wait_dscnt 0x0
	v_min_u16 v7, v7, v8
	ds_store_b16 v4, v7
.LBB10_43:
	s_or_b32 exec_lo, exec_lo, s2
.LBB10_44:
	s_delay_alu instid0(SALU_CYCLE_1) | instskip(SKIP_4) | instid1(SALU_CYCLE_1)
	s_or_b32 exec_lo, exec_lo, s1
	s_wait_dscnt 0x0
	s_barrier_signal -1
	s_barrier_wait -1
	s_and_saveexec_b32 s0, vcc_lo
	s_xor_b32 s1, exec_lo, s0
	s_cbranch_execz .LBB10_49
; %bb.45:
	s_mov_b32 s2, exec_lo
	v_cmpx_gt_u32_e32 0x88, v0
	s_cbranch_execz .LBB10_48
; %bb.46:
	v_add_nc_u32_e32 v7, 0xffffff88, v0
	s_delay_alu instid0(VALU_DEP_1)
	v_cmp_lt_u32_e64 s0, v7, v5
	s_and_b32 exec_lo, exec_lo, s0
	s_cbranch_execz .LBB10_48
; %bb.47:
	v_add_nc_u32_e32 v7, 0xffffff10, v6
	ds_load_u16 v8, v1
	ds_load_u16 v7, v7
	s_wait_dscnt 0x0
	v_max_u16 v7, v8, v7
	ds_store_b16 v1, v7
.LBB10_48:
	s_or_b32 exec_lo, exec_lo, s2
.LBB10_49:
	s_and_not1_saveexec_b32 s1, s1
	s_cbranch_execz .LBB10_54
; %bb.50:
	s_mov_b32 s2, exec_lo
	v_cmpx_gt_u32_e32 8, v0
	s_cbranch_execz .LBB10_53
; %bb.51:
	v_or_b32_e32 v7, 8, v0
	s_delay_alu instid0(VALU_DEP_1)
	v_cmp_lt_u32_e64 s0, v7, v5
	s_and_b32 exec_lo, exec_lo, s0
	s_cbranch_execz .LBB10_53
; %bb.52:
	ds_load_u16 v7, v4
	ds_load_u16 v8, v4 offset:16
	s_wait_dscnt 0x0
	v_min_u16 v7, v7, v8
	ds_store_b16 v4, v7
.LBB10_53:
	s_or_b32 exec_lo, exec_lo, s2
.LBB10_54:
	s_delay_alu instid0(SALU_CYCLE_1) | instskip(SKIP_4) | instid1(SALU_CYCLE_1)
	s_or_b32 exec_lo, exec_lo, s1
	s_wait_dscnt 0x0
	s_barrier_signal -1
	s_barrier_wait -1
	s_and_saveexec_b32 s0, vcc_lo
	s_xor_b32 s1, exec_lo, s0
	s_cbranch_execz .LBB10_59
; %bb.55:
	s_mov_b32 s2, exec_lo
	v_cmpx_gt_u32_e32 0x84, v0
	s_cbranch_execz .LBB10_58
; %bb.56:
	v_add_nc_u32_e32 v7, 0xffffff84, v0
	s_delay_alu instid0(VALU_DEP_1)
	v_cmp_lt_u32_e64 s0, v7, v5
	s_and_b32 exec_lo, exec_lo, s0
	s_cbranch_execz .LBB10_58
; %bb.57:
	v_add_nc_u32_e32 v7, 0xffffff08, v6
	ds_load_u16 v8, v1
	ds_load_u16 v7, v7
	s_wait_dscnt 0x0
	v_max_u16 v7, v8, v7
	ds_store_b16 v1, v7
.LBB10_58:
	s_or_b32 exec_lo, exec_lo, s2
.LBB10_59:
	s_and_not1_saveexec_b32 s1, s1
	s_cbranch_execz .LBB10_64
; %bb.60:
	s_mov_b32 s2, exec_lo
	v_cmpx_gt_u32_e32 4, v0
	s_cbranch_execz .LBB10_63
; %bb.61:
	v_or_b32_e32 v7, 4, v0
	s_delay_alu instid0(VALU_DEP_1)
	v_cmp_lt_u32_e64 s0, v7, v5
	s_and_b32 exec_lo, exec_lo, s0
	s_cbranch_execz .LBB10_63
; %bb.62:
	ds_load_u16 v7, v4
	ds_load_u16 v8, v4 offset:8
	s_wait_dscnt 0x0
	v_min_u16 v7, v7, v8
	ds_store_b16 v4, v7
.LBB10_63:
	s_or_b32 exec_lo, exec_lo, s2
.LBB10_64:
	s_delay_alu instid0(SALU_CYCLE_1) | instskip(SKIP_4) | instid1(SALU_CYCLE_1)
	s_or_b32 exec_lo, exec_lo, s1
	s_wait_dscnt 0x0
	s_barrier_signal -1
	s_barrier_wait -1
	s_and_saveexec_b32 s0, vcc_lo
	s_xor_b32 s1, exec_lo, s0
	s_cbranch_execz .LBB10_69
; %bb.65:
	s_mov_b32 s2, exec_lo
	v_cmpx_gt_u32_e32 0x82, v0
	s_cbranch_execz .LBB10_68
; %bb.66:
	v_add_nc_u32_e32 v7, 0xffffff82, v0
	s_delay_alu instid0(VALU_DEP_1)
	v_cmp_lt_u32_e64 s0, v7, v5
	s_and_b32 exec_lo, exec_lo, s0
	s_cbranch_execz .LBB10_68
; %bb.67:
	v_add_nc_u32_e32 v5, 0xffffff04, v6
	ds_load_u16 v6, v1
	ds_load_u16 v5, v5
	s_wait_dscnt 0x0
	v_max_u16 v5, v6, v5
	ds_store_b16 v1, v5
.LBB10_68:
	s_or_b32 exec_lo, exec_lo, s2
                                        ; implicit-def: $vgpr5
.LBB10_69:
	s_and_not1_saveexec_b32 s1, s1
	s_cbranch_execz .LBB10_74
; %bb.70:
	s_mov_b32 s2, exec_lo
	v_cmpx_gt_u32_e32 2, v0
	s_cbranch_execz .LBB10_73
; %bb.71:
	v_or_b32_e32 v6, 2, v0
	s_delay_alu instid0(VALU_DEP_1)
	v_cmp_lt_u32_e64 s0, v6, v5
	s_and_b32 exec_lo, exec_lo, s0
	s_cbranch_execz .LBB10_73
; %bb.72:
	ds_load_u16 v5, v4
	ds_load_u16 v6, v4 offset:4
	s_wait_dscnt 0x0
	v_min_u16 v5, v5, v6
	ds_store_b16 v4, v5
.LBB10_73:
	s_or_b32 exec_lo, exec_lo, s2
.LBB10_74:
	s_delay_alu instid0(SALU_CYCLE_1)
	s_or_b32 exec_lo, exec_lo, s1
	v_cmp_lt_u64_e64 s0, 1, v[2:3]
	s_wait_dscnt 0x0
	s_barrier_signal -1
	s_barrier_wait -1
	s_and_saveexec_b32 s1, vcc_lo
	s_delay_alu instid0(SALU_CYCLE_1)
	s_xor_b32 s1, exec_lo, s1
	s_cbranch_execz .LBB10_78
; %bb.75:
	v_cmp_eq_u32_e32 vcc_lo, 0x80, v0
	s_and_b32 s3, vcc_lo, s0
	s_delay_alu instid0(SALU_CYCLE_1)
	s_and_saveexec_b32 s2, s3
	s_cbranch_execz .LBB10_77
; %bb.76:
	v_mov_b32_e32 v2, 0
	ds_load_u16 v3, v1
	ds_load_u16 v2, v2 offset:2
	s_wait_dscnt 0x0
	v_max_u16 v2, v3, v2
	ds_store_b16 v1, v2
.LBB10_77:
	s_or_b32 exec_lo, exec_lo, s2
                                        ; implicit-def: $vgpr4
.LBB10_78:
	s_and_not1_saveexec_b32 s1, s1
	s_cbranch_execz .LBB10_82
; %bb.79:
	v_cmp_eq_u32_e32 vcc_lo, 0, v0
	s_and_b32 s2, vcc_lo, s0
	s_delay_alu instid0(SALU_CYCLE_1)
	s_and_saveexec_b32 s0, s2
	s_cbranch_execz .LBB10_81
; %bb.80:
	v_mov_b32_e32 v1, 0
	ds_load_u16 v2, v4
	ds_load_u16 v1, v1 offset:514
	s_wait_dscnt 0x0
	v_min_u16 v1, v2, v1
	ds_store_b16 v4, v1
.LBB10_81:
	s_or_b32 exec_lo, exec_lo, s0
.LBB10_82:
	s_delay_alu instid0(SALU_CYCLE_1)
	s_or_b32 exec_lo, exec_lo, s1
	s_wait_dscnt 0x0
	s_barrier_signal -1
	s_barrier_wait -1
	s_mov_b32 s0, exec_lo
	v_cmpx_eq_u32_e32 0, v0
	s_cbranch_execz .LBB10_84
; %bb.83:
	v_mov_b32_e32 v0, 0
	ds_load_u16 v1, v0 offset:512
	ds_load_u16 v2, v0
	s_wait_dscnt 0x1
	v_and_b32_e32 v3, 0xffff, v1
	s_wait_dscnt 0x0
	s_delay_alu instid0(VALU_DEP_1) | instskip(NEXT) | instid1(VALU_DEP_1)
	v_sub_nc_u32_e32 v2, v2, v3
	v_clz_i32_u32_e32 v2, v2
	s_delay_alu instid0(VALU_DEP_1) | instskip(NEXT) | instid1(VALU_DEP_1)
	v_min_u32_e32 v2, 0xffff, v2
	v_sub_nc_u16 v2, 32, v2 clamp
	s_wait_kmcnt 0x0
	s_clause 0x1
	global_store_b16 v0, v1, s[10:11]
	global_store_b8 v0, v2, s[8:9]
.LBB10_84:
	s_endpgm
	.section	.rodata,"a",@progbits
	.p2align	6, 0x0
	.amdhsa_kernel _Z27bitPackConfigFinalizeKernelIttEvPKT_S2_PhPT0_PKm
		.amdhsa_group_segment_fixed_size 1024
		.amdhsa_private_segment_fixed_size 0
		.amdhsa_kernarg_size 40
		.amdhsa_user_sgpr_count 2
		.amdhsa_user_sgpr_dispatch_ptr 0
		.amdhsa_user_sgpr_queue_ptr 0
		.amdhsa_user_sgpr_kernarg_segment_ptr 1
		.amdhsa_user_sgpr_dispatch_id 0
		.amdhsa_user_sgpr_kernarg_preload_length 0
		.amdhsa_user_sgpr_kernarg_preload_offset 0
		.amdhsa_user_sgpr_private_segment_size 0
		.amdhsa_wavefront_size32 1
		.amdhsa_uses_dynamic_stack 0
		.amdhsa_enable_private_segment 0
		.amdhsa_system_sgpr_workgroup_id_x 1
		.amdhsa_system_sgpr_workgroup_id_y 0
		.amdhsa_system_sgpr_workgroup_id_z 0
		.amdhsa_system_sgpr_workgroup_info 0
		.amdhsa_system_vgpr_workitem_id 0
		.amdhsa_next_free_vgpr 14
		.amdhsa_next_free_sgpr 12
		.amdhsa_named_barrier_count 0
		.amdhsa_reserve_vcc 1
		.amdhsa_float_round_mode_32 0
		.amdhsa_float_round_mode_16_64 0
		.amdhsa_float_denorm_mode_32 3
		.amdhsa_float_denorm_mode_16_64 3
		.amdhsa_fp16_overflow 0
		.amdhsa_memory_ordered 1
		.amdhsa_forward_progress 1
		.amdhsa_inst_pref_size 17
		.amdhsa_round_robin_scheduling 0
		.amdhsa_exception_fp_ieee_invalid_op 0
		.amdhsa_exception_fp_denorm_src 0
		.amdhsa_exception_fp_ieee_div_zero 0
		.amdhsa_exception_fp_ieee_overflow 0
		.amdhsa_exception_fp_ieee_underflow 0
		.amdhsa_exception_fp_ieee_inexact 0
		.amdhsa_exception_int_div_zero 0
	.end_amdhsa_kernel
	.section	.text._Z27bitPackConfigFinalizeKernelIttEvPKT_S2_PhPT0_PKm,"axG",@progbits,_Z27bitPackConfigFinalizeKernelIttEvPKT_S2_PhPT0_PKm,comdat
.Lfunc_end10:
	.size	_Z27bitPackConfigFinalizeKernelIttEvPKT_S2_PhPT0_PKm, .Lfunc_end10-_Z27bitPackConfigFinalizeKernelIttEvPKT_S2_PhPT0_PKm
                                        ; -- End function
	.set _Z27bitPackConfigFinalizeKernelIttEvPKT_S2_PhPT0_PKm.num_vgpr, 14
	.set _Z27bitPackConfigFinalizeKernelIttEvPKT_S2_PhPT0_PKm.num_agpr, 0
	.set _Z27bitPackConfigFinalizeKernelIttEvPKT_S2_PhPT0_PKm.numbered_sgpr, 12
	.set _Z27bitPackConfigFinalizeKernelIttEvPKT_S2_PhPT0_PKm.num_named_barrier, 0
	.set _Z27bitPackConfigFinalizeKernelIttEvPKT_S2_PhPT0_PKm.private_seg_size, 0
	.set _Z27bitPackConfigFinalizeKernelIttEvPKT_S2_PhPT0_PKm.uses_vcc, 1
	.set _Z27bitPackConfigFinalizeKernelIttEvPKT_S2_PhPT0_PKm.uses_flat_scratch, 0
	.set _Z27bitPackConfigFinalizeKernelIttEvPKT_S2_PhPT0_PKm.has_dyn_sized_stack, 0
	.set _Z27bitPackConfigFinalizeKernelIttEvPKT_S2_PhPT0_PKm.has_recursion, 0
	.set _Z27bitPackConfigFinalizeKernelIttEvPKT_S2_PhPT0_PKm.has_indirect_call, 0
	.section	.AMDGPU.csdata,"",@progbits
; Kernel info:
; codeLenInByte = 2140
; TotalNumSgprs: 14
; NumVgprs: 14
; ScratchSize: 0
; MemoryBound: 0
; FloatMode: 240
; IeeeMode: 1
; LDSByteSize: 1024 bytes/workgroup (compile time only)
; SGPRBlocks: 0
; VGPRBlocks: 0
; NumSGPRsForWavesPerEU: 14
; NumVGPRsForWavesPerEU: 14
; NamedBarCnt: 0
; Occupancy: 16
; WaveLimiterHint : 0
; COMPUTE_PGM_RSRC2:SCRATCH_EN: 0
; COMPUTE_PGM_RSRC2:USER_SGPR: 2
; COMPUTE_PGM_RSRC2:TRAP_HANDLER: 0
; COMPUTE_PGM_RSRC2:TGID_X_EN: 1
; COMPUTE_PGM_RSRC2:TGID_Y_EN: 0
; COMPUTE_PGM_RSRC2:TGID_Z_EN: 0
; COMPUTE_PGM_RSRC2:TIDIG_COMP_CNT: 0
	.section	.text._Z13bitPackKernelItjEvPKhPKT_PT0_S4_PKm,"axG",@progbits,_Z13bitPackKernelItjEvPKhPKT_PT0_S4_PKm,comdat
	.protected	_Z13bitPackKernelItjEvPKhPKT_PT0_S4_PKm ; -- Begin function _Z13bitPackKernelItjEvPKhPKT_PT0_S4_PKm
	.globl	_Z13bitPackKernelItjEvPKhPKT_PT0_S4_PKm
	.p2align	8
	.type	_Z13bitPackKernelItjEvPKhPKT_PT0_S4_PKm,@function
_Z13bitPackKernelItjEvPKhPKT_PT0_S4_PKm: ; @_Z13bitPackKernelItjEvPKhPKT_PT0_S4_PKm
; %bb.0:
	s_load_b64 s[2:3], s[0:1], 0x20
	s_mov_b32 s13, 0
	s_wait_kmcnt 0x0
	s_load_b64 s[2:3], s[2:3], 0x0
	s_wait_kmcnt 0x0
	s_and_b64 s[4:5], s[2:3], 0xff
	s_lshr_b64 s[6:7], s[2:3], 8
	s_cmp_lg_u64 s[4:5], 0
	s_cselect_b32 s4, -1, 0
	s_delay_alu instid0(SALU_CYCLE_1)
	s_cmp_lg_u32 s4, 0
	s_add_co_ci_u32 s20, s6, 0
	s_bfe_u32 s4, ttmp6, 0x4000c
	s_and_b32 s5, ttmp6, 15
	s_add_co_i32 s4, s4, 1
	s_getreg_b32 s6, hwreg(HW_REG_IB_STS2, 6, 4)
	s_mul_i32 s4, ttmp9, s4
	s_delay_alu instid0(SALU_CYCLE_1) | instskip(SKIP_2) | instid1(SALU_CYCLE_1)
	s_add_co_i32 s5, s5, s4
	s_cmp_eq_u32 s6, 0
	s_cselect_b32 s21, ttmp9, s5
	s_cmp_ge_i32 s21, s20
	s_cbranch_scc1 .LBB11_37
; %bb.1:
	s_load_b256 s[4:11], s[0:1], 0x0
	v_mov_b32_e32 v2, 0
	s_wait_kmcnt 0x0
	s_clause 0x1
	global_load_u8 v1, v2, s[4:5]
	global_load_u16 v22, v2, s[6:7]
	s_load_b32 s1, s[0:1], 0x28
	s_bfe_i64 s[6:7], s[2:3], 0x200000
	v_dual_lshlrev_b32 v5, 5, v0 :: v_dual_lshlrev_b32 v24, 1, v0
	s_delay_alu instid0(VALU_DEP_1) | instskip(NEXT) | instid1(VALU_DEP_1)
	v_lshl_add_u32 v23, s21, 13, v5
	v_sub_nc_u32_e32 v25, 0, v23
	s_wait_kmcnt 0x0
	s_lshl_b32 s22, s1, 13
	s_wait_loadcnt 0x1
	v_readfirstlane_b32 s12, v1
	v_and_b32_e32 v26, 0xff, v1
	s_and_b64 s[4:5], s[12:13], 0xff
	s_delay_alu instid0(SALU_CYCLE_1) | instskip(SKIP_2) | instid1(VALU_DEP_1)
	v_cvt_f32_ubyte0_e32 v3, s4
	s_sub_nc_u64 s[14:15], 0, s[4:5]
	s_sub_co_i32 s23, 0, s4
	v_fmac_f32_e64 v3, 0x4f800000, 0
	s_delay_alu instid0(VALU_DEP_1) | instskip(SKIP_1) | instid1(TRANS32_DEP_1)
	v_rcp_f32_e32 v3, v3
	v_nop
	v_mul_f32_e32 v3, 0x5f7ffffc, v3
	s_delay_alu instid0(VALU_DEP_1) | instskip(NEXT) | instid1(VALU_DEP_1)
	v_mul_f32_e32 v4, 0x2f800000, v3
	v_trunc_f32_e32 v6, v4
	s_delay_alu instid0(VALU_DEP_1) | instskip(SKIP_1) | instid1(VALU_DEP_2)
	v_fmac_f32_e32 v3, 0xcf800000, v6
	v_cvt_u32_f32_e32 v5, v6
	v_cvt_u32_f32_e32 v4, v3
	s_branch .LBB11_3
.LBB11_2:                               ;   in Loop: Header=BB11_3 Depth=1
	s_wait_xcnt 0x0
	s_or_b32 exec_lo, exec_lo, s0
	v_subrev_nc_u32_e32 v25, s22, v25
	v_add_nc_u32_e32 v23, s22, v23
	s_add_co_i32 s21, s1, s21
	s_delay_alu instid0(SALU_CYCLE_1)
	s_cmp_ge_i32 s21, s20
	s_cbranch_scc1 .LBB11_37
.LBB11_3:                               ; =>This Loop Header: Depth=1
                                        ;     Child Loop BB11_19 Depth 2
                                        ;       Child Loop BB11_24 Depth 3
                                        ;       Child Loop BB11_28 Depth 3
	s_lshl_b32 s16, s21, 8
                                        ; implicit-def: $vgpr10_vgpr11
	s_mov_b32 s0, exec_lo
	v_add_nc_u32_e32 v6, s16, v0
	s_delay_alu instid0(VALU_DEP_1) | instskip(NEXT) | instid1(VALU_DEP_1)
	v_ashrrev_i32_e32 v7, 31, v6
	v_lshlrev_b64_e32 v[8:9], 5, v[6:7]
	s_delay_alu instid0(VALU_DEP_1) | instskip(NEXT) | instid1(VALU_DEP_1)
	v_mov_b32_e32 v3, v9
	v_cmpx_ne_u64_e32 0, v[2:3]
	s_xor_b32 s12, exec_lo, s0
	s_cbranch_execz .LBB11_5
; %bb.4:                                ;   in Loop: Header=BB11_3 Depth=1
	v_mul_u64_e32 v[10:11], s[14:15], v[4:5]
	v_dual_mov_b32 v15, v2 :: v_dual_mov_b32 v17, v2
	s_delay_alu instid0(VALU_DEP_2) | instskip(SKIP_1) | instid1(VALU_DEP_4)
	v_mul_hi_u32 v13, v4, v11
	v_mul_lo_u32 v12, v4, v11
	v_mul_hi_u32 v14, v4, v10
	v_mul_lo_u32 v1, v5, v10
	v_mul_hi_u32 v3, v5, v10
	v_mul_hi_u32 v16, v5, v11
	v_mul_lo_u32 v10, v5, v11
	v_add_nc_u64_e32 v[12:13], v[14:15], v[12:13]
	s_delay_alu instid0(VALU_DEP_1) | instskip(NEXT) | instid1(VALU_DEP_2)
	v_add_co_u32 v1, vcc_lo, v12, v1
	v_add_co_ci_u32_e32 v14, vcc_lo, v13, v3, vcc_lo
	v_add_co_ci_u32_e32 v11, vcc_lo, 0, v16, vcc_lo
	s_delay_alu instid0(VALU_DEP_1) | instskip(NEXT) | instid1(VALU_DEP_1)
	v_add_nc_u64_e32 v[10:11], v[14:15], v[10:11]
	v_add_co_u32 v10, vcc_lo, v4, v10
	s_delay_alu instid0(VALU_DEP_1) | instskip(NEXT) | instid1(VALU_DEP_1)
	v_add_co_ci_u32_e64 v11, null, v5, v11, vcc_lo
	v_mul_u64_e32 v[12:13], s[14:15], v[10:11]
	s_delay_alu instid0(VALU_DEP_1) | instskip(SKIP_1) | instid1(VALU_DEP_3)
	v_mul_hi_u32 v15, v10, v13
	v_mul_lo_u32 v14, v10, v13
	v_mul_hi_u32 v16, v10, v12
	v_mul_lo_u32 v1, v11, v12
	v_mul_hi_u32 v3, v11, v12
	v_mul_hi_u32 v18, v11, v13
	v_mul_lo_u32 v12, v11, v13
	v_add_nc_u64_e32 v[14:15], v[16:17], v[14:15]
	s_delay_alu instid0(VALU_DEP_1) | instskip(NEXT) | instid1(VALU_DEP_2)
	v_add_co_u32 v1, vcc_lo, v14, v1
	v_add_co_ci_u32_e32 v16, vcc_lo, v15, v3, vcc_lo
	v_add_co_ci_u32_e32 v13, vcc_lo, 0, v18, vcc_lo
	v_mov_b32_e32 v15, v2
	s_delay_alu instid0(VALU_DEP_2) | instskip(SKIP_1) | instid1(VALU_DEP_2)
	v_add_nc_u64_e32 v[12:13], v[16:17], v[12:13]
	v_mov_b32_e32 v16, v8
	v_add_co_u32 v10, vcc_lo, v10, v12
	s_delay_alu instid0(VALU_DEP_1) | instskip(SKIP_2) | instid1(VALU_DEP_3)
	v_add_co_ci_u32_e64 v14, null, v11, v13, vcc_lo
	v_dual_mov_b32 v12, v9 :: v_dual_mov_b32 v13, v2
	v_mov_b32_e32 v11, v2
	v_mul_u64_e32 v[16:17], v[16:17], v[14:15]
	s_delay_alu instid0(VALU_DEP_2) | instskip(SKIP_2) | instid1(VALU_DEP_1)
	v_mul_u64_e32 v[18:19], v[12:13], v[10:11]
	v_mul_u64_e32 v[12:13], v[12:13], v[14:15]
	v_mul_hi_u32 v10, v8, v10
	v_add_nc_u64_e32 v[10:11], v[10:11], v[16:17]
	s_delay_alu instid0(VALU_DEP_1) | instskip(NEXT) | instid1(VALU_DEP_2)
	v_add_co_u32 v1, vcc_lo, v10, v18
	v_add_co_ci_u32_e32 v14, vcc_lo, v11, v19, vcc_lo
	v_add_co_ci_u32_e32 v13, vcc_lo, 0, v13, vcc_lo
	s_delay_alu instid0(VALU_DEP_1) | instskip(NEXT) | instid1(VALU_DEP_1)
	v_add_nc_u64_e32 v[10:11], v[14:15], v[12:13]
	v_mul_u64_e32 v[12:13], s[4:5], v[10:11]
	s_delay_alu instid0(VALU_DEP_1) | instskip(NEXT) | instid1(VALU_DEP_1)
	v_sub_co_u32 v1, vcc_lo, v8, v12
	v_sub_co_ci_u32_e64 v3, null, v9, v13, vcc_lo
	s_delay_alu instid0(VALU_DEP_2) | instskip(NEXT) | instid1(VALU_DEP_1)
	v_sub_co_u32 v12, vcc_lo, v1, s4
	v_subrev_co_ci_u32_e64 v14, null, 0, v3, vcc_lo
	v_cmp_eq_u32_e64 s0, 0, v3
	s_delay_alu instid0(VALU_DEP_3) | instskip(SKIP_3) | instid1(VALU_DEP_2)
	v_cmp_le_u32_e32 vcc_lo, s4, v12
	v_add_nc_u64_e32 v[12:13], 2, v[10:11]
	v_cndmask_b32_e64 v15, 0, -1, vcc_lo
	v_cmp_eq_u32_e32 vcc_lo, 0, v14
	v_cndmask_b32_e32 v16, -1, v15, vcc_lo
	v_cmp_le_u32_e32 vcc_lo, s4, v1
	v_add_nc_u64_e32 v[14:15], 1, v[10:11]
	v_cndmask_b32_e64 v1, 0, -1, vcc_lo
	s_delay_alu instid0(VALU_DEP_4) | instskip(NEXT) | instid1(VALU_DEP_2)
	v_cmp_ne_u32_e32 vcc_lo, 0, v16
	v_dual_cndmask_b32 v1, -1, v1, s0 :: v_dual_cndmask_b32 v12, v14, v12, vcc_lo
	s_delay_alu instid0(VALU_DEP_4) | instskip(NEXT) | instid1(VALU_DEP_2)
	v_cndmask_b32_e32 v3, v15, v13, vcc_lo
	v_cmp_ne_u32_e32 vcc_lo, 0, v1
	s_delay_alu instid0(VALU_DEP_2)
	v_dual_cndmask_b32 v10, v10, v12 :: v_dual_cndmask_b32 v11, v11, v3
.LBB11_5:                               ;   in Loop: Header=BB11_3 Depth=1
	s_or_saveexec_b32 s0, s12
	v_cvt_f32_u32_e32 v1, s4
	s_xor_b32 exec_lo, exec_lo, s0
	s_cbranch_execz .LBB11_7
; %bb.6:                                ;   in Loop: Header=BB11_3 Depth=1
	s_delay_alu instid0(VALU_DEP_1) | instskip(SKIP_1) | instid1(TRANS32_DEP_1)
	v_rcp_iflag_f32_e32 v3, v1
	v_nop
	v_mul_f32_e32 v3, 0x4f7ffffe, v3
	s_delay_alu instid0(VALU_DEP_1) | instskip(NEXT) | instid1(VALU_DEP_1)
	v_cvt_u32_f32_e32 v3, v3
	v_mul_lo_u32 v10, s23, v3
	s_delay_alu instid0(VALU_DEP_1) | instskip(NEXT) | instid1(VALU_DEP_1)
	v_mul_hi_u32 v10, v3, v10
	v_add_nc_u32_e32 v3, v3, v10
	s_delay_alu instid0(VALU_DEP_1) | instskip(NEXT) | instid1(VALU_DEP_1)
	v_mul_hi_u32 v3, v8, v3
	v_mul_lo_u32 v10, v3, s4
	s_delay_alu instid0(VALU_DEP_1) | instskip(NEXT) | instid1(VALU_DEP_1)
	v_dual_add_nc_u32 v11, 1, v3 :: v_dual_sub_nc_u32 v10, v8, v10
	v_subrev_nc_u32_e32 v12, s4, v10
	v_cmp_le_u32_e32 vcc_lo, s4, v10
	s_delay_alu instid0(VALU_DEP_2) | instskip(NEXT) | instid1(VALU_DEP_1)
	v_dual_cndmask_b32 v10, v10, v12 :: v_dual_cndmask_b32 v3, v3, v11
	v_cmp_le_u32_e32 vcc_lo, s4, v10
	s_delay_alu instid0(VALU_DEP_2) | instskip(NEXT) | instid1(VALU_DEP_1)
	v_add_nc_u32_e32 v11, 1, v3
	v_dual_cndmask_b32 v10, v3, v11 :: v_dual_mov_b32 v11, v2
.LBB11_7:                               ;   in Loop: Header=BB11_3 Depth=1
	s_or_b32 exec_lo, exec_lo, s0
	v_add_nc_u64_e32 v[12:13], 32, v[8:9]
                                        ; implicit-def: $vgpr14_vgpr15
	s_mov_b32 s0, exec_lo
	s_delay_alu instid0(VALU_DEP_1) | instskip(NEXT) | instid1(VALU_DEP_1)
	v_mov_b32_e32 v3, v13
	v_cmpx_ne_u64_e32 0, v[2:3]
	s_xor_b32 s12, exec_lo, s0
	s_cbranch_execz .LBB11_9
; %bb.8:                                ;   in Loop: Header=BB11_3 Depth=1
	v_mul_u64_e32 v[14:15], s[14:15], v[4:5]
	v_dual_mov_b32 v19, v2 :: v_dual_mov_b32 v21, v2
	s_delay_alu instid0(VALU_DEP_2) | instskip(SKIP_1) | instid1(VALU_DEP_4)
	v_mul_hi_u32 v17, v4, v15
	v_mul_lo_u32 v16, v4, v15
	v_mul_hi_u32 v18, v4, v14
	v_mul_lo_u32 v3, v5, v14
	v_mul_hi_u32 v9, v5, v14
	v_mul_hi_u32 v20, v5, v15
	v_mul_lo_u32 v14, v5, v15
	v_add_nc_u64_e32 v[16:17], v[18:19], v[16:17]
	s_delay_alu instid0(VALU_DEP_1) | instskip(NEXT) | instid1(VALU_DEP_2)
	v_add_co_u32 v3, vcc_lo, v16, v3
	v_add_co_ci_u32_e32 v18, vcc_lo, v17, v9, vcc_lo
	v_add_co_ci_u32_e32 v15, vcc_lo, 0, v20, vcc_lo
	s_delay_alu instid0(VALU_DEP_1) | instskip(NEXT) | instid1(VALU_DEP_1)
	v_add_nc_u64_e32 v[14:15], v[18:19], v[14:15]
	v_add_co_u32 v14, vcc_lo, v4, v14
	s_delay_alu instid0(VALU_DEP_1) | instskip(NEXT) | instid1(VALU_DEP_1)
	v_add_co_ci_u32_e64 v15, null, v5, v15, vcc_lo
	v_mul_u64_e32 v[16:17], s[14:15], v[14:15]
	s_delay_alu instid0(VALU_DEP_1) | instskip(SKIP_1) | instid1(VALU_DEP_3)
	v_mul_hi_u32 v19, v14, v17
	v_mul_lo_u32 v18, v14, v17
	v_mul_hi_u32 v20, v14, v16
	v_mul_lo_u32 v3, v15, v16
	v_mul_hi_u32 v9, v15, v16
	v_mul_hi_u32 v27, v15, v17
	v_mul_lo_u32 v16, v15, v17
	v_add_nc_u64_e32 v[18:19], v[20:21], v[18:19]
	s_delay_alu instid0(VALU_DEP_1) | instskip(NEXT) | instid1(VALU_DEP_2)
	v_add_co_u32 v3, vcc_lo, v18, v3
	v_add_co_ci_u32_e32 v20, vcc_lo, v19, v9, vcc_lo
	v_add_co_ci_u32_e32 v17, vcc_lo, 0, v27, vcc_lo
	v_mov_b32_e32 v19, v2
	s_delay_alu instid0(VALU_DEP_2) | instskip(SKIP_1) | instid1(VALU_DEP_2)
	v_add_nc_u64_e32 v[16:17], v[20:21], v[16:17]
	v_mov_b32_e32 v20, v12
	v_add_co_u32 v14, vcc_lo, v14, v16
	s_delay_alu instid0(VALU_DEP_1) | instskip(SKIP_2) | instid1(VALU_DEP_3)
	v_add_co_ci_u32_e64 v18, null, v15, v17, vcc_lo
	v_dual_mov_b32 v16, v13 :: v_dual_mov_b32 v17, v2
	v_mov_b32_e32 v15, v2
	v_mul_u64_e32 v[20:21], v[20:21], v[18:19]
	s_delay_alu instid0(VALU_DEP_2) | instskip(SKIP_2) | instid1(VALU_DEP_1)
	v_mul_u64_e32 v[28:29], v[16:17], v[14:15]
	v_mul_u64_e32 v[16:17], v[16:17], v[18:19]
	v_mul_hi_u32 v14, v12, v14
	v_add_nc_u64_e32 v[14:15], v[14:15], v[20:21]
	s_delay_alu instid0(VALU_DEP_1) | instskip(NEXT) | instid1(VALU_DEP_2)
	v_add_co_u32 v3, vcc_lo, v14, v28
	v_add_co_ci_u32_e32 v18, vcc_lo, v15, v29, vcc_lo
	v_add_co_ci_u32_e32 v17, vcc_lo, 0, v17, vcc_lo
	s_delay_alu instid0(VALU_DEP_1) | instskip(NEXT) | instid1(VALU_DEP_1)
	v_add_nc_u64_e32 v[14:15], v[18:19], v[16:17]
	v_mul_u64_e32 v[16:17], s[4:5], v[14:15]
	s_delay_alu instid0(VALU_DEP_1) | instskip(NEXT) | instid1(VALU_DEP_1)
	v_sub_co_u32 v3, vcc_lo, v12, v16
	v_sub_co_ci_u32_e64 v9, null, v13, v17, vcc_lo
	s_delay_alu instid0(VALU_DEP_2) | instskip(NEXT) | instid1(VALU_DEP_1)
	v_sub_co_u32 v16, vcc_lo, v3, s4
	v_subrev_co_ci_u32_e64 v18, null, 0, v9, vcc_lo
	v_cmp_eq_u32_e64 s0, 0, v9
	s_delay_alu instid0(VALU_DEP_3) | instskip(SKIP_3) | instid1(VALU_DEP_2)
	v_cmp_le_u32_e32 vcc_lo, s4, v16
	v_add_nc_u64_e32 v[16:17], 2, v[14:15]
	v_cndmask_b32_e64 v19, 0, -1, vcc_lo
	v_cmp_eq_u32_e32 vcc_lo, 0, v18
	v_cndmask_b32_e32 v20, -1, v19, vcc_lo
	v_cmp_le_u32_e32 vcc_lo, s4, v3
	v_add_nc_u64_e32 v[18:19], 1, v[14:15]
	v_cndmask_b32_e64 v3, 0, -1, vcc_lo
	s_delay_alu instid0(VALU_DEP_4) | instskip(NEXT) | instid1(VALU_DEP_2)
	v_cmp_ne_u32_e32 vcc_lo, 0, v20
	v_dual_cndmask_b32 v3, -1, v3, s0 :: v_dual_cndmask_b32 v9, v19, v17, vcc_lo
	s_delay_alu instid0(VALU_DEP_4) | instskip(NEXT) | instid1(VALU_DEP_2)
	v_cndmask_b32_e32 v16, v18, v16, vcc_lo
	v_cmp_ne_u32_e32 vcc_lo, 0, v3
	s_delay_alu instid0(VALU_DEP_2)
	v_dual_cndmask_b32 v15, v15, v9 :: v_dual_cndmask_b32 v14, v14, v16
.LBB11_9:                               ;   in Loop: Header=BB11_3 Depth=1
	s_and_not1_saveexec_b32 s0, s12
	s_cbranch_execz .LBB11_11
; %bb.10:                               ;   in Loop: Header=BB11_3 Depth=1
	v_rcp_iflag_f32_e32 v3, v1
	v_nop
	s_delay_alu instid0(TRANS32_DEP_1) | instskip(NEXT) | instid1(VALU_DEP_1)
	v_mul_f32_e32 v3, 0x4f7ffffe, v3
	v_cvt_u32_f32_e32 v3, v3
	s_delay_alu instid0(VALU_DEP_1) | instskip(NEXT) | instid1(VALU_DEP_1)
	v_mul_lo_u32 v9, s23, v3
	v_mul_hi_u32 v9, v3, v9
	s_delay_alu instid0(VALU_DEP_1) | instskip(NEXT) | instid1(VALU_DEP_1)
	v_add_nc_u32_e32 v3, v3, v9
	v_mul_hi_u32 v3, v12, v3
	s_delay_alu instid0(VALU_DEP_1) | instskip(NEXT) | instid1(VALU_DEP_1)
	v_mul_lo_u32 v9, v3, s4
	v_dual_add_nc_u32 v14, 1, v3 :: v_dual_sub_nc_u32 v9, v12, v9
	s_delay_alu instid0(VALU_DEP_1) | instskip(SKIP_1) | instid1(VALU_DEP_2)
	v_subrev_nc_u32_e32 v15, s4, v9
	v_cmp_le_u32_e32 vcc_lo, s4, v9
	v_dual_cndmask_b32 v9, v9, v15, vcc_lo :: v_dual_mov_b32 v15, v2
	s_delay_alu instid0(VALU_DEP_4) | instskip(NEXT) | instid1(VALU_DEP_2)
	v_cndmask_b32_e32 v3, v3, v14, vcc_lo
	v_cmp_le_u32_e32 vcc_lo, s4, v9
	s_delay_alu instid0(VALU_DEP_2) | instskip(NEXT) | instid1(VALU_DEP_1)
	v_add_nc_u32_e32 v14, 1, v3
	v_cndmask_b32_e32 v14, v3, v14, vcc_lo
.LBB11_11:                              ;   in Loop: Header=BB11_3 Depth=1
	s_or_b32 exec_lo, exec_lo, s0
	s_ashr_i32 s17, s16, 31
	s_delay_alu instid0(SALU_CYCLE_1) | instskip(NEXT) | instid1(SALU_CYCLE_1)
	s_lshl_b64 s[18:19], s[16:17], 5
	s_and_b64 s[24:25], s[18:19], 0xffffffff00000000
	s_delay_alu instid0(SALU_CYCLE_1)
	s_cmp_lg_u64 s[24:25], 0
	s_cbranch_scc0 .LBB11_35
; %bb.12:                               ;   in Loop: Header=BB11_3 Depth=1
	v_mul_u64_e32 v[16:17], s[14:15], v[4:5]
	v_dual_mov_b32 v21, v2 :: v_dual_mov_b32 v29, v2
	s_delay_alu instid0(VALU_DEP_2) | instskip(SKIP_1) | instid1(VALU_DEP_4)
	v_mul_hi_u32 v19, v4, v17
	v_mul_lo_u32 v18, v4, v17
	v_mul_hi_u32 v20, v4, v16
	v_mul_lo_u32 v3, v5, v16
	v_mul_hi_u32 v9, v5, v16
	v_mul_hi_u32 v27, v5, v17
	v_mul_lo_u32 v16, v5, v17
	v_add_nc_u64_e32 v[18:19], v[20:21], v[18:19]
	s_delay_alu instid0(VALU_DEP_1) | instskip(NEXT) | instid1(VALU_DEP_2)
	v_add_co_u32 v3, vcc_lo, v18, v3
	v_add_co_ci_u32_e32 v20, vcc_lo, v19, v9, vcc_lo
	v_add_co_ci_u32_e32 v17, vcc_lo, 0, v27, vcc_lo
	s_delay_alu instid0(VALU_DEP_1) | instskip(NEXT) | instid1(VALU_DEP_1)
	v_add_nc_u64_e32 v[16:17], v[20:21], v[16:17]
	v_add_co_u32 v16, vcc_lo, v4, v16
	s_delay_alu instid0(VALU_DEP_1) | instskip(NEXT) | instid1(VALU_DEP_1)
	v_add_co_ci_u32_e64 v17, null, v5, v17, vcc_lo
	v_mul_u64_e32 v[18:19], s[14:15], v[16:17]
	s_delay_alu instid0(VALU_DEP_1) | instskip(SKIP_1) | instid1(VALU_DEP_3)
	v_mul_hi_u32 v21, v16, v19
	v_mul_lo_u32 v20, v16, v19
	v_mul_hi_u32 v28, v16, v18
	v_mul_lo_u32 v3, v17, v18
	v_mul_hi_u32 v9, v17, v18
	v_mul_hi_u32 v27, v17, v19
	v_mul_lo_u32 v18, v17, v19
	v_add_nc_u64_e32 v[20:21], v[28:29], v[20:21]
	s_delay_alu instid0(VALU_DEP_1) | instskip(NEXT) | instid1(VALU_DEP_2)
	v_add_co_u32 v3, vcc_lo, v20, v3
	v_add_co_ci_u32_e32 v28, vcc_lo, v21, v9, vcc_lo
	v_add_co_ci_u32_e32 v19, vcc_lo, 0, v27, vcc_lo
	s_delay_alu instid0(VALU_DEP_1) | instskip(NEXT) | instid1(VALU_DEP_1)
	v_add_nc_u64_e32 v[18:19], v[28:29], v[18:19]
	v_add_co_u32 v3, vcc_lo, v16, v18
	s_delay_alu instid0(VALU_DEP_1) | instskip(SKIP_1) | instid1(VALU_DEP_3)
	v_add_co_ci_u32_e64 v9, null, v17, v19, vcc_lo
	v_mov_b32_e32 v19, v2
	v_mul_hi_u32 v18, s18, v3
	v_mul_lo_u32 v21, s19, v3
	s_delay_alu instid0(VALU_DEP_4) | instskip(SKIP_4) | instid1(VALU_DEP_4)
	v_mul_hi_u32 v17, s18, v9
	v_mul_lo_u32 v16, s18, v9
	v_mul_hi_u32 v3, s19, v3
	v_mul_hi_u32 v27, s19, v9
	v_mul_lo_u32 v20, s19, v9
	v_add_nc_u64_e32 v[16:17], v[18:19], v[16:17]
	s_delay_alu instid0(VALU_DEP_1) | instskip(NEXT) | instid1(VALU_DEP_2)
	v_add_co_u32 v9, vcc_lo, v16, v21
	v_add_co_ci_u32_e32 v18, vcc_lo, v17, v3, vcc_lo
	v_add_co_ci_u32_e32 v21, vcc_lo, 0, v27, vcc_lo
	s_delay_alu instid0(VALU_DEP_1) | instskip(NEXT) | instid1(VALU_DEP_1)
	v_add_nc_u64_e32 v[16:17], v[18:19], v[20:21]
	v_mul_u64_e32 v[18:19], s[4:5], v[16:17]
	s_delay_alu instid0(VALU_DEP_1) | instskip(NEXT) | instid1(VALU_DEP_1)
	v_sub_co_u32 v3, vcc_lo, s18, v18
	v_sub_co_ci_u32_e64 v9, null, s19, v19, vcc_lo
	s_delay_alu instid0(VALU_DEP_2) | instskip(NEXT) | instid1(VALU_DEP_1)
	v_sub_co_u32 v18, vcc_lo, v3, s4
	v_subrev_co_ci_u32_e64 v20, null, 0, v9, vcc_lo
	v_cmp_eq_u32_e64 s0, 0, v9
	s_delay_alu instid0(VALU_DEP_3) | instskip(SKIP_3) | instid1(VALU_DEP_2)
	v_cmp_le_u32_e32 vcc_lo, s4, v18
	v_add_nc_u64_e32 v[18:19], 1, v[16:17]
	v_cndmask_b32_e64 v21, 0, -1, vcc_lo
	v_cmp_eq_u32_e32 vcc_lo, 0, v20
	v_cndmask_b32_e32 v27, -1, v21, vcc_lo
	v_cmp_le_u32_e32 vcc_lo, s4, v3
	v_add_nc_u64_e32 v[20:21], 2, v[16:17]
	v_cndmask_b32_e64 v3, 0, -1, vcc_lo
	s_delay_alu instid0(VALU_DEP_4) | instskip(NEXT) | instid1(VALU_DEP_2)
	v_cmp_ne_u32_e32 vcc_lo, 0, v27
	v_dual_cndmask_b32 v3, -1, v3, s0 :: v_dual_cndmask_b32 v9, v18, v20, vcc_lo
	s_delay_alu instid0(VALU_DEP_4) | instskip(NEXT) | instid1(VALU_DEP_2)
	v_cndmask_b32_e32 v18, v19, v21, vcc_lo
	v_cmp_ne_u32_e32 vcc_lo, 0, v3
	s_delay_alu instid0(VALU_DEP_2)
	v_dual_cndmask_b32 v17, v17, v18 :: v_dual_cndmask_b32 v16, v16, v9
	s_cbranch_execnz .LBB11_14
.LBB11_13:                              ;   in Loop: Header=BB11_3 Depth=1
	v_rcp_iflag_f32_e32 v3, v1
	v_nop
	s_delay_alu instid0(TRANS32_DEP_1) | instskip(NEXT) | instid1(VALU_DEP_1)
	v_mul_f32_e32 v3, 0x4f7ffffe, v3
	v_cvt_u32_f32_e32 v3, v3
	s_delay_alu instid0(VALU_DEP_1) | instskip(SKIP_1) | instid1(SALU_CYCLE_1)
	v_readfirstlane_b32 s0, v3
	s_mul_i32 s12, s23, s0
	s_mul_hi_u32 s12, s0, s12
	s_delay_alu instid0(SALU_CYCLE_1) | instskip(NEXT) | instid1(SALU_CYCLE_1)
	s_add_co_i32 s0, s0, s12
	s_mul_hi_u32 s0, s18, s0
	s_delay_alu instid0(SALU_CYCLE_1) | instskip(SKIP_2) | instid1(SALU_CYCLE_1)
	s_mul_i32 s12, s0, s4
	s_add_co_i32 s17, s0, 1
	s_sub_co_i32 s12, s18, s12
	s_sub_co_i32 s18, s12, s4
	s_cmp_ge_u32 s12, s4
	s_cselect_b32 s0, s17, s0
	s_cselect_b32 s12, s18, s12
	s_add_co_i32 s17, s0, 1
	s_cmp_ge_u32 s12, s4
	s_cselect_b32 s12, s17, s0
	s_delay_alu instid0(SALU_CYCLE_1)
	v_mov_b64_e32 v[16:17], s[12:13]
.LBB11_14:                              ;   in Loop: Header=BB11_3 Depth=1
	s_addk_co_i32 s16, 0x100
	s_delay_alu instid0(SALU_CYCLE_1) | instskip(NEXT) | instid1(SALU_CYCLE_1)
	s_ashr_i32 s17, s16, 31
	s_lshl_b64 s[16:17], s[16:17], 5
	s_delay_alu instid0(SALU_CYCLE_1) | instskip(NEXT) | instid1(SALU_CYCLE_1)
	s_and_b64 s[18:19], s[16:17], 0xffffffff00000000
	s_cmp_lg_u64 s[18:19], 0
	s_cbranch_scc0 .LBB11_36
; %bb.15:                               ;   in Loop: Header=BB11_3 Depth=1
	v_mul_u64_e32 v[18:19], s[14:15], v[4:5]
	v_dual_mov_b32 v29, v2 :: v_dual_mov_b32 v31, v2
	s_delay_alu instid0(VALU_DEP_2) | instskip(SKIP_1) | instid1(VALU_DEP_4)
	v_mul_hi_u32 v21, v4, v19
	v_mul_lo_u32 v20, v4, v19
	v_mul_hi_u32 v28, v4, v18
	v_mul_lo_u32 v3, v5, v18
	v_mul_hi_u32 v9, v5, v18
	v_mul_hi_u32 v27, v5, v19
	v_mul_lo_u32 v18, v5, v19
	v_add_nc_u64_e32 v[20:21], v[28:29], v[20:21]
	s_delay_alu instid0(VALU_DEP_1) | instskip(NEXT) | instid1(VALU_DEP_2)
	v_add_co_u32 v3, vcc_lo, v20, v3
	v_add_co_ci_u32_e32 v28, vcc_lo, v21, v9, vcc_lo
	v_add_co_ci_u32_e32 v19, vcc_lo, 0, v27, vcc_lo
	s_delay_alu instid0(VALU_DEP_1) | instskip(NEXT) | instid1(VALU_DEP_1)
	v_add_nc_u64_e32 v[18:19], v[28:29], v[18:19]
	v_add_co_u32 v18, vcc_lo, v4, v18
	s_delay_alu instid0(VALU_DEP_1) | instskip(NEXT) | instid1(VALU_DEP_1)
	v_add_co_ci_u32_e64 v19, null, v5, v19, vcc_lo
	v_mul_u64_e32 v[20:21], s[14:15], v[18:19]
	s_delay_alu instid0(VALU_DEP_1) | instskip(SKIP_1) | instid1(VALU_DEP_3)
	v_mul_hi_u32 v29, v18, v21
	v_mul_lo_u32 v28, v18, v21
	v_mul_hi_u32 v30, v18, v20
	v_mul_lo_u32 v3, v19, v20
	v_mul_hi_u32 v9, v19, v20
	v_mul_hi_u32 v27, v19, v21
	v_mul_lo_u32 v20, v19, v21
	v_add_nc_u64_e32 v[28:29], v[30:31], v[28:29]
	s_delay_alu instid0(VALU_DEP_1) | instskip(NEXT) | instid1(VALU_DEP_2)
	v_add_co_u32 v3, vcc_lo, v28, v3
	v_add_co_ci_u32_e32 v30, vcc_lo, v29, v9, vcc_lo
	v_add_co_ci_u32_e32 v21, vcc_lo, 0, v27, vcc_lo
	s_delay_alu instid0(VALU_DEP_1) | instskip(NEXT) | instid1(VALU_DEP_1)
	v_add_nc_u64_e32 v[20:21], v[30:31], v[20:21]
	v_add_co_u32 v3, vcc_lo, v18, v20
	s_delay_alu instid0(VALU_DEP_1) | instskip(SKIP_1) | instid1(VALU_DEP_3)
	v_add_co_ci_u32_e64 v9, null, v19, v21, vcc_lo
	v_mov_b32_e32 v21, v2
	v_mul_hi_u32 v20, s16, v3
	v_mul_lo_u32 v27, s17, v3
	s_delay_alu instid0(VALU_DEP_4) | instskip(SKIP_4) | instid1(VALU_DEP_4)
	v_mul_hi_u32 v19, s16, v9
	v_mul_lo_u32 v18, s16, v9
	v_mul_hi_u32 v3, s17, v3
	v_mul_hi_u32 v29, s17, v9
	v_mul_lo_u32 v28, s17, v9
	v_add_nc_u64_e32 v[18:19], v[20:21], v[18:19]
	s_delay_alu instid0(VALU_DEP_1) | instskip(NEXT) | instid1(VALU_DEP_2)
	v_add_co_u32 v9, vcc_lo, v18, v27
	v_add_co_ci_u32_e32 v20, vcc_lo, v19, v3, vcc_lo
	v_add_co_ci_u32_e32 v29, vcc_lo, 0, v29, vcc_lo
	s_delay_alu instid0(VALU_DEP_1) | instskip(NEXT) | instid1(VALU_DEP_1)
	v_add_nc_u64_e32 v[18:19], v[20:21], v[28:29]
	v_mul_u64_e32 v[20:21], s[4:5], v[18:19]
	s_delay_alu instid0(VALU_DEP_1) | instskip(NEXT) | instid1(VALU_DEP_1)
	v_sub_co_u32 v3, vcc_lo, s16, v20
	v_sub_co_ci_u32_e64 v9, null, s17, v21, vcc_lo
	s_delay_alu instid0(VALU_DEP_2) | instskip(NEXT) | instid1(VALU_DEP_1)
	v_sub_co_u32 v20, vcc_lo, v3, s4
	v_subrev_co_ci_u32_e64 v27, null, 0, v9, vcc_lo
	v_cmp_eq_u32_e64 s0, 0, v9
	s_delay_alu instid0(VALU_DEP_3) | instskip(SKIP_3) | instid1(VALU_DEP_2)
	v_cmp_le_u32_e32 vcc_lo, s4, v20
	v_add_nc_u64_e32 v[20:21], 1, v[18:19]
	v_cndmask_b32_e64 v28, 0, -1, vcc_lo
	v_cmp_eq_u32_e32 vcc_lo, 0, v27
	v_cndmask_b32_e32 v27, -1, v28, vcc_lo
	v_cmp_le_u32_e32 vcc_lo, s4, v3
	v_add_nc_u64_e32 v[28:29], 2, v[18:19]
	v_cndmask_b32_e64 v3, 0, -1, vcc_lo
	s_delay_alu instid0(VALU_DEP_4) | instskip(NEXT) | instid1(VALU_DEP_2)
	v_cmp_ne_u32_e32 vcc_lo, 0, v27
	v_dual_cndmask_b32 v3, -1, v3, s0 :: v_dual_cndmask_b32 v9, v20, v28, vcc_lo
	s_delay_alu instid0(VALU_DEP_4) | instskip(NEXT) | instid1(VALU_DEP_2)
	v_cndmask_b32_e32 v20, v21, v29, vcc_lo
	v_cmp_ne_u32_e32 vcc_lo, 0, v3
	s_delay_alu instid0(VALU_DEP_2)
	v_dual_cndmask_b32 v19, v19, v20 :: v_dual_cndmask_b32 v18, v18, v9
	s_cbranch_execnz .LBB11_17
.LBB11_16:                              ;   in Loop: Header=BB11_3 Depth=1
	v_rcp_iflag_f32_e32 v1, v1
	v_nop
	s_delay_alu instid0(TRANS32_DEP_1) | instskip(NEXT) | instid1(VALU_DEP_1)
	v_mul_f32_e32 v1, 0x4f7ffffe, v1
	v_cvt_u32_f32_e32 v1, v1
	s_delay_alu instid0(VALU_DEP_1) | instskip(SKIP_1) | instid1(SALU_CYCLE_1)
	v_readfirstlane_b32 s0, v1
	s_mul_i32 s12, s23, s0
	s_mul_hi_u32 s12, s0, s12
	s_delay_alu instid0(SALU_CYCLE_1) | instskip(NEXT) | instid1(SALU_CYCLE_1)
	s_add_co_i32 s0, s0, s12
	s_mul_hi_u32 s0, s16, s0
	s_delay_alu instid0(SALU_CYCLE_1) | instskip(SKIP_2) | instid1(SALU_CYCLE_1)
	s_mul_i32 s12, s0, s4
	s_add_co_i32 s18, s0, 1
	s_sub_co_i32 s12, s16, s12
	s_sub_co_i32 s19, s12, s4
	s_cmp_ge_u32 s12, s4
	s_cselect_b32 s0, s18, s0
	s_cselect_b32 s12, s19, s12
	s_add_co_i32 s18, s0, 1
	s_cmp_ge_u32 s12, s4
	s_cselect_b32 s12, s18, s0
	s_delay_alu instid0(SALU_CYCLE_1)
	v_mov_b64_e32 v[18:19], s[12:13]
.LBB11_17:                              ;   in Loop: Header=BB11_3 Depth=1
	s_delay_alu instid0(VALU_DEP_1)
	v_mul_u64_e32 v[20:21], s[4:5], v[18:19]
	v_mov_b32_e32 v29, s13
	v_and_b32_e32 v16, 0xffffff00, v16
	v_min_u64 v[10:11], s[6:7], v[10:11]
	v_mov_b32_e32 v3, 0
	v_sub_nc_u64_e32 v[20:21], s[16:17], v[20:21]
	s_delay_alu instid0(VALU_DEP_1) | instskip(SKIP_2) | instid1(VALU_DEP_1)
	v_cmp_ne_u64_e32 vcc_lo, 0, v[20:21]
	v_mov_b32_e32 v21, v2
	v_cndmask_b32_e64 v28, 0, 1, vcc_lo
	v_add_nc_u64_e32 v[18:19], v[18:19], v[28:29]
	s_delay_alu instid0(VALU_DEP_1) | instskip(NEXT) | instid1(VALU_DEP_1)
	v_and_b32_e32 v20, 0xff, v18
	v_cmp_eq_u64_e32 vcc_lo, 0, v[20:21]
	v_cndmask_b32_e64 v20, 0x100, 0, vcc_lo
	s_delay_alu instid0(VALU_DEP_1) | instskip(SKIP_1) | instid1(VALU_DEP_2)
	v_add_nc_u64_e32 v[20:21], v[20:21], v[18:19]
	v_min_u64 v[18:19], s[6:7], v[16:17]
	v_and_b32_e32 v20, 0xffffff00, v20
	s_delay_alu instid0(VALU_DEP_1) | instskip(NEXT) | instid1(VALU_DEP_1)
	v_min_u64 v[16:17], s[6:7], v[20:21]
	v_cmp_ge_i32_e32 vcc_lo, v18, v16
	s_cbranch_vccnz .LBB11_33
; %bb.18:                               ;   in Loop: Header=BB11_3 Depth=1
	v_mul_u64_e32 v[20:21], s[4:5], v[14:15]
	v_dual_mov_b32 v3, 0 :: v_dual_mov_b32 v1, v8
	s_delay_alu instid0(VALU_DEP_2) | instskip(NEXT) | instid1(VALU_DEP_1)
	v_sub_nc_u64_e32 v[12:13], v[12:13], v[20:21]
	v_cmp_ne_u64_e32 vcc_lo, 0, v[12:13]
	v_mov_b32_e32 v13, s13
	v_cndmask_b32_e64 v12, 0, 1, vcc_lo
	s_delay_alu instid0(VALU_DEP_1) | instskip(NEXT) | instid1(VALU_DEP_1)
	v_add_nc_u64_e32 v[12:13], v[14:15], v[12:13]
	v_min_u64 v[12:13], s[6:7], v[12:13]
.LBB11_19:                              ;   Parent Loop BB11_3 Depth=1
                                        ; =>  This Loop Header: Depth=2
                                        ;       Child Loop BB11_24 Depth 3
                                        ;       Child Loop BB11_28 Depth 3
	s_delay_alu instid0(VALU_DEP_1)
	v_add_nc_u32_e32 v14, v18, v0
	s_mov_b32 s0, exec_lo
	s_wait_loadcnt 0x0
	s_barrier_signal -1
	s_barrier_wait -1
	v_ashrrev_i32_e32 v15, 31, v14
	s_delay_alu instid0(VALU_DEP_1)
	v_cmpx_gt_u64_e64 s[2:3], v[14:15]
	s_cbranch_execz .LBB11_21
; %bb.20:                               ;   in Loop: Header=BB11_19 Depth=2
	v_lshl_add_u64 v[14:15], v[14:15], 1, s[10:11]
	global_load_u16 v9, v[14:15], off
	s_wait_loadcnt 0x0
	v_sub_nc_u16 v9, v9, v22
	ds_store_b16 v24, v9
.LBB11_21:                              ;   in Loop: Header=BB11_19 Depth=2
	s_wait_xcnt 0x0
	s_or_b32 exec_lo, exec_lo, s0
	v_add_nc_u32_e32 v9, 0x100, v18
	v_max_i32_e32 v14, v10, v18
	s_wait_dscnt 0x0
	s_barrier_signal -1
	s_barrier_wait -1
	v_min_i32_e32 v11, v12, v9
	s_mov_b32 s0, exec_lo
	s_delay_alu instid0(VALU_DEP_1)
	v_cmpx_gt_i32_e64 v11, v14
	s_xor_b32 s12, exec_lo, s0
	s_cbranch_execz .LBB11_31
; %bb.22:                               ;   in Loop: Header=BB11_19 Depth=2
	v_sub_nc_u32_e32 v13, v11, v14
	s_mov_b32 s17, -1
	s_mov_b32 s16, exec_lo
	s_delay_alu instid0(VALU_DEP_1)
	v_cmpx_lt_u32_e32 1, v13
	s_cbranch_execz .LBB11_26
; %bb.23:                               ;   in Loop: Header=BB11_19 Depth=2
	v_dual_add_nc_u32 v15, 1, v14 :: v_dual_bitop2_b32 v17, -2, v13 bitop3:0x40
	v_mov_b32_e32 v19, 0
	s_mov_b32 s17, 0
	s_mov_b32 s18, 0
	s_delay_alu instid0(VALU_DEP_2)
	v_mov_b32_e32 v27, v17
	v_mov_b64_e32 v[20:21], v[14:15]
.LBB11_24:                              ;   Parent Loop BB11_3 Depth=1
                                        ;     Parent Loop BB11_19 Depth=2
                                        ; =>    This Inner Loop Header: Depth=3
	s_delay_alu instid0(VALU_DEP_1) | instskip(NEXT) | instid1(VALU_DEP_2)
	v_mul_lo_u32 v28, v21, v26
	v_mul_lo_u32 v29, v20, v26
	v_add_nc_u32_e32 v15, s18, v14
	s_add_co_i32 s18, s18, 2
	s_delay_alu instid0(VALU_DEP_3) | instskip(NEXT) | instid1(VALU_DEP_2)
	v_dual_add_nc_u32 v20, 2, v20 :: v_dual_sub_nc_u32 v28, v28, v1
	v_dual_sub_nc_u32 v15, v15, v18 :: v_dual_sub_nc_u32 v29, v29, v8
	s_delay_alu instid0(VALU_DEP_1) | instskip(NEXT) | instid1(VALU_DEP_2)
	v_dual_sub_nc_u32 v30, 0, v28 :: v_dual_lshlrev_b32 v15, 1, v15
	v_cmp_lt_i32_e32 vcc_lo, 0, v29
	v_cmp_lt_i32_e64 s0, 0, v28
	ds_load_b32 v15, v15
	v_sub_nc_u32_e32 v31, 0, v29
	s_wait_dscnt 0x0
	v_and_b32_e32 v32, 0xffff, v15
	s_delay_alu instid0(VALU_DEP_1) | instskip(NEXT) | instid1(VALU_DEP_1)
	v_dual_lshrrev_b32 v15, 16, v15 :: v_dual_lshlrev_b32 v33, v29, v32
	v_dual_lshlrev_b32 v34, v28, v15 :: v_dual_lshrrev_b32 v15, v30, v15
	v_dual_lshrrev_b32 v30, v31, v32 :: v_dual_add_nc_u32 v27, -2, v27
	s_delay_alu instid0(VALU_DEP_1) | instskip(NEXT) | instid1(VALU_DEP_2)
	v_dual_cndmask_b32 v15, v15, v34, s0 :: v_dual_cndmask_b32 v28, v30, v33, vcc_lo
	v_cmp_eq_u32_e32 vcc_lo, 0, v27
	s_delay_alu instid0(VALU_DEP_2) | instskip(NEXT) | instid1(VALU_DEP_3)
	v_dual_add_nc_u32 v21, 2, v21 :: v_dual_bitop2_b32 v19, v15, v19 bitop3:0x54
	v_or_b32_e32 v3, v28, v3
	s_or_b32 s17, vcc_lo, s17
	s_delay_alu instid0(SALU_CYCLE_1)
	s_and_not1_b32 exec_lo, exec_lo, s17
	s_cbranch_execnz .LBB11_24
; %bb.25:                               ;   in Loop: Header=BB11_19 Depth=2
	s_or_b32 exec_lo, exec_lo, s17
	v_cmp_ne_u32_e32 vcc_lo, v13, v17
	v_dual_add_nc_u32 v14, v14, v17 :: v_dual_bitop2_b32 v3, v3, v19 bitop3:0x54
	s_or_not1_b32 s17, vcc_lo, exec_lo
.LBB11_26:                              ;   in Loop: Header=BB11_19 Depth=2
	s_or_b32 exec_lo, exec_lo, s16
	s_and_saveexec_b32 s0, s17
	s_cbranch_execz .LBB11_30
; %bb.27:                               ;   in Loop: Header=BB11_19 Depth=2
	v_mul_lo_u32 v15, v26, v14
	s_mov_b32 s16, 0
	s_delay_alu instid0(VALU_DEP_1)
	v_dual_add_nc_u32 v13, v25, v15 :: v_dual_sub_nc_u32 v15, v23, v15
.LBB11_28:                              ;   Parent Loop BB11_3 Depth=1
                                        ;     Parent Loop BB11_19 Depth=2
                                        ; =>    This Inner Loop Header: Depth=3
	v_sub_nc_u32_e32 v17, v14, v18
	s_delay_alu instid0(VALU_DEP_2) | instskip(NEXT) | instid1(VALU_DEP_2)
	v_cmp_lt_i32_e32 vcc_lo, 0, v13
	v_dual_add_nc_u32 v14, 1, v14 :: v_dual_lshlrev_b32 v17, 1, v17
	ds_load_u16 v17, v17
	s_wait_dscnt 0x0
	v_dual_lshlrev_b32 v19, v13, v17 :: v_dual_lshrrev_b32 v17, v15, v17
	v_dual_add_nc_u32 v13, v13, v26 :: v_dual_sub_nc_u32 v15, v15, v26
	s_delay_alu instid0(VALU_DEP_2) | instskip(SKIP_1) | instid1(VALU_DEP_2)
	v_cndmask_b32_e32 v17, v17, v19, vcc_lo
	v_cmp_ge_i32_e32 vcc_lo, v14, v11
	v_or_b32_e32 v3, v17, v3
	s_or_b32 s16, vcc_lo, s16
	s_delay_alu instid0(SALU_CYCLE_1)
	s_and_not1_b32 exec_lo, exec_lo, s16
	s_cbranch_execnz .LBB11_28
; %bb.29:                               ;   in Loop: Header=BB11_19 Depth=2
	s_or_b32 exec_lo, exec_lo, s16
.LBB11_30:                              ;   in Loop: Header=BB11_19 Depth=2
	s_delay_alu instid0(SALU_CYCLE_1)
	s_or_b32 exec_lo, exec_lo, s0
.LBB11_31:                              ;   in Loop: Header=BB11_19 Depth=2
	s_delay_alu instid0(SALU_CYCLE_1)
	s_or_b32 exec_lo, exec_lo, s12
	v_cmp_lt_i32_e32 vcc_lo, v9, v16
	s_cbranch_vccz .LBB11_33
; %bb.32:                               ;   in Loop: Header=BB11_19 Depth=2
	v_mov_b32_e32 v18, v9
	s_branch .LBB11_19
.LBB11_33:                              ;   in Loop: Header=BB11_3 Depth=1
	v_ashrrev_i32_e32 v11, 31, v10
	s_mov_b32 s0, exec_lo
	s_delay_alu instid0(VALU_DEP_1)
	v_cmpx_gt_u64_e64 s[2:3], v[10:11]
	s_cbranch_execz .LBB11_2
; %bb.34:                               ;   in Loop: Header=BB11_3 Depth=1
	v_lshl_add_u64 v[6:7], v[6:7], 2, s[8:9]
	global_store_b32 v[6:7], v3, off
	s_branch .LBB11_2
.LBB11_35:                              ;   in Loop: Header=BB11_3 Depth=1
                                        ; implicit-def: $vgpr16_vgpr17
	s_branch .LBB11_13
.LBB11_36:                              ;   in Loop: Header=BB11_3 Depth=1
                                        ; implicit-def: $vgpr18_vgpr19
	s_branch .LBB11_16
.LBB11_37:
	s_endpgm
	.section	.rodata,"a",@progbits
	.p2align	6, 0x0
	.amdhsa_kernel _Z13bitPackKernelItjEvPKhPKT_PT0_S4_PKm
		.amdhsa_group_segment_fixed_size 512
		.amdhsa_private_segment_fixed_size 0
		.amdhsa_kernarg_size 296
		.amdhsa_user_sgpr_count 2
		.amdhsa_user_sgpr_dispatch_ptr 0
		.amdhsa_user_sgpr_queue_ptr 0
		.amdhsa_user_sgpr_kernarg_segment_ptr 1
		.amdhsa_user_sgpr_dispatch_id 0
		.amdhsa_user_sgpr_kernarg_preload_length 0
		.amdhsa_user_sgpr_kernarg_preload_offset 0
		.amdhsa_user_sgpr_private_segment_size 0
		.amdhsa_wavefront_size32 1
		.amdhsa_uses_dynamic_stack 0
		.amdhsa_enable_private_segment 0
		.amdhsa_system_sgpr_workgroup_id_x 1
		.amdhsa_system_sgpr_workgroup_id_y 0
		.amdhsa_system_sgpr_workgroup_id_z 0
		.amdhsa_system_sgpr_workgroup_info 0
		.amdhsa_system_vgpr_workitem_id 0
		.amdhsa_next_free_vgpr 35
		.amdhsa_next_free_sgpr 26
		.amdhsa_named_barrier_count 0
		.amdhsa_reserve_vcc 1
		.amdhsa_float_round_mode_32 0
		.amdhsa_float_round_mode_16_64 0
		.amdhsa_float_denorm_mode_32 3
		.amdhsa_float_denorm_mode_16_64 3
		.amdhsa_fp16_overflow 0
		.amdhsa_memory_ordered 1
		.amdhsa_forward_progress 1
		.amdhsa_inst_pref_size 30
		.amdhsa_round_robin_scheduling 0
		.amdhsa_exception_fp_ieee_invalid_op 0
		.amdhsa_exception_fp_denorm_src 0
		.amdhsa_exception_fp_ieee_div_zero 0
		.amdhsa_exception_fp_ieee_overflow 0
		.amdhsa_exception_fp_ieee_underflow 0
		.amdhsa_exception_fp_ieee_inexact 0
		.amdhsa_exception_int_div_zero 0
	.end_amdhsa_kernel
	.section	.text._Z13bitPackKernelItjEvPKhPKT_PT0_S4_PKm,"axG",@progbits,_Z13bitPackKernelItjEvPKhPKT_PT0_S4_PKm,comdat
.Lfunc_end11:
	.size	_Z13bitPackKernelItjEvPKhPKT_PT0_S4_PKm, .Lfunc_end11-_Z13bitPackKernelItjEvPKhPKT_PT0_S4_PKm
                                        ; -- End function
	.set _Z13bitPackKernelItjEvPKhPKT_PT0_S4_PKm.num_vgpr, 35
	.set _Z13bitPackKernelItjEvPKhPKT_PT0_S4_PKm.num_agpr, 0
	.set _Z13bitPackKernelItjEvPKhPKT_PT0_S4_PKm.numbered_sgpr, 26
	.set _Z13bitPackKernelItjEvPKhPKT_PT0_S4_PKm.num_named_barrier, 0
	.set _Z13bitPackKernelItjEvPKhPKT_PT0_S4_PKm.private_seg_size, 0
	.set _Z13bitPackKernelItjEvPKhPKT_PT0_S4_PKm.uses_vcc, 1
	.set _Z13bitPackKernelItjEvPKhPKT_PT0_S4_PKm.uses_flat_scratch, 0
	.set _Z13bitPackKernelItjEvPKhPKT_PT0_S4_PKm.has_dyn_sized_stack, 0
	.set _Z13bitPackKernelItjEvPKhPKT_PT0_S4_PKm.has_recursion, 0
	.set _Z13bitPackKernelItjEvPKhPKT_PT0_S4_PKm.has_indirect_call, 0
	.section	.AMDGPU.csdata,"",@progbits
; Kernel info:
; codeLenInByte = 3732
; TotalNumSgprs: 28
; NumVgprs: 35
; ScratchSize: 0
; MemoryBound: 0
; FloatMode: 240
; IeeeMode: 1
; LDSByteSize: 512 bytes/workgroup (compile time only)
; SGPRBlocks: 0
; VGPRBlocks: 2
; NumSGPRsForWavesPerEU: 28
; NumVGPRsForWavesPerEU: 35
; NamedBarCnt: 0
; Occupancy: 16
; WaveLimiterHint : 0
; COMPUTE_PGM_RSRC2:SCRATCH_EN: 0
; COMPUTE_PGM_RSRC2:USER_SGPR: 2
; COMPUTE_PGM_RSRC2:TRAP_HANDLER: 0
; COMPUTE_PGM_RSRC2:TGID_X_EN: 1
; COMPUTE_PGM_RSRC2:TGID_Y_EN: 0
; COMPUTE_PGM_RSRC2:TGID_Z_EN: 0
; COMPUTE_PGM_RSRC2:TIDIG_COMP_CNT: 0
	.section	.text._Z23bitPackConfigScanKernelIiiEvPT_S1_PKT0_PKm,"axG",@progbits,_Z23bitPackConfigScanKernelIiiEvPT_S1_PKT0_PKm,comdat
	.protected	_Z23bitPackConfigScanKernelIiiEvPT_S1_PKT0_PKm ; -- Begin function _Z23bitPackConfigScanKernelIiiEvPT_S1_PKT0_PKm
	.globl	_Z23bitPackConfigScanKernelIiiEvPT_S1_PKT0_PKm
	.p2align	8
	.type	_Z23bitPackConfigScanKernelIiiEvPT_S1_PKT0_PKm,@function
_Z23bitPackConfigScanKernelIiiEvPT_S1_PKT0_PKm: ; @_Z23bitPackConfigScanKernelIiiEvPT_S1_PKT0_PKm
; %bb.0:
	s_load_b256 s[4:11], s[0:1], 0x0
	s_wait_kmcnt 0x0
	s_load_b64 s[2:3], s[10:11], 0x0
	s_wait_kmcnt 0x0
	s_and_b64 s[10:11], s[2:3], 0xff
	s_lshr_b64 s[12:13], s[2:3], 8
	s_cmp_lg_u64 s[10:11], 0
	s_cselect_b32 s3, -1, 0
	s_delay_alu instid0(SALU_CYCLE_1)
	s_cmp_lg_u32 s3, 0
	s_add_co_ci_u32 s10, s12, 0
	s_bfe_u32 s3, ttmp6, 0x4000c
	s_and_b32 s11, ttmp6, 15
	s_add_co_i32 s3, s3, 1
	s_getreg_b32 s12, hwreg(HW_REG_IB_STS2, 6, 4)
	s_mul_i32 s3, ttmp9, s3
	s_delay_alu instid0(SALU_CYCLE_1) | instskip(SKIP_2) | instid1(SALU_CYCLE_1)
	s_add_co_i32 s11, s11, s3
	s_cmp_eq_u32 s12, 0
	s_cselect_b32 s3, ttmp9, s11
	s_cmp_ge_u32 s3, s10
	s_cbranch_scc1 .LBB12_82
; %bb.1:
	s_cmp_lt_i32 s3, s10
	s_cbranch_scc1 .LBB12_83
; %bb.2:
	s_cbranch_execz .LBB12_84
; %bb.3:
	v_dual_mov_b32 v1, 0 :: v_dual_mov_b32 v2, 0
	s_mov_b32 s1, 0
.LBB12_4:
	v_lshlrev_b32_e32 v3, 2, v0
	v_cmp_lt_u32_e32 vcc_lo, 0x7f, v0
	ds_store_2addr_stride64_b32 v3, v2, v1 offset1:4
	v_add_nc_u32_e32 v1, 0xfffffe00, v3
	s_wait_dscnt 0x0
	s_barrier_signal -1
	s_barrier_wait -1
	s_and_saveexec_b32 s0, vcc_lo
	s_delay_alu instid0(SALU_CYCLE_1)
	s_xor_b32 s2, exec_lo, s0
	s_cbranch_execz .LBB12_8
; %bb.5:
	s_mov_b32 s8, exec_lo
	v_cmpx_gt_i32_e64 s1, v0
	s_cbranch_execz .LBB12_7
; %bb.6:
	ds_load_b32 v2, v1
	ds_load_b32 v4, v3
	s_wait_dscnt 0x0
	v_max_i32_e32 v2, v2, v4
	ds_store_b32 v1, v2
.LBB12_7:
	s_or_b32 exec_lo, exec_lo, s8
.LBB12_8:
	s_or_saveexec_b32 s2, s2
	v_add_nc_u32_e32 v2, 0x400, v3
	s_xor_b32 exec_lo, exec_lo, s2
	s_cbranch_execz .LBB12_12
; %bb.9:
	v_or_b32_e32 v4, 0x80, v0
	s_mov_b32 s8, exec_lo
	s_delay_alu instid0(VALU_DEP_1)
	v_cmpx_gt_i32_e64 s1, v4
	s_cbranch_execz .LBB12_11
; %bb.10:
	ds_load_2addr_stride64_b32 v[4:5], v2 offset1:2
	s_wait_dscnt 0x0
	v_min_i32_e32 v4, v4, v5
	ds_store_b32 v2, v4
.LBB12_11:
	s_or_b32 exec_lo, exec_lo, s8
.LBB12_12:
	s_delay_alu instid0(SALU_CYCLE_1) | instskip(SKIP_4) | instid1(SALU_CYCLE_1)
	s_or_b32 exec_lo, exec_lo, s2
	s_wait_dscnt 0x0
	s_barrier_signal -1
	s_barrier_wait -1
	s_and_saveexec_b32 s0, vcc_lo
	s_xor_b32 s2, exec_lo, s0
	s_cbranch_execz .LBB12_17
; %bb.13:
	s_mov_b32 s8, exec_lo
	v_cmpx_gt_u32_e32 0xc0, v0
	s_cbranch_execz .LBB12_16
; %bb.14:
	v_subrev_nc_u32_e32 v4, 64, v0
	s_delay_alu instid0(VALU_DEP_1)
	v_cmp_gt_i32_e64 s0, s1, v4
	s_and_b32 exec_lo, exec_lo, s0
	s_cbranch_execz .LBB12_16
; %bb.15:
	v_add_nc_u32_e32 v4, 0xffffff00, v3
	ds_load_b32 v5, v1
	ds_load_b32 v4, v4
	s_wait_dscnt 0x0
	v_max_i32_e32 v4, v5, v4
	ds_store_b32 v1, v4
.LBB12_16:
	s_or_b32 exec_lo, exec_lo, s8
.LBB12_17:
	s_and_not1_saveexec_b32 s2, s2
	s_cbranch_execz .LBB12_22
; %bb.18:
	s_mov_b32 s8, exec_lo
	v_cmpx_gt_u32_e32 64, v0
	s_cbranch_execz .LBB12_21
; %bb.19:
	v_or_b32_e32 v4, 64, v0
	s_delay_alu instid0(VALU_DEP_1)
	v_cmp_gt_i32_e64 s0, s1, v4
	s_and_b32 exec_lo, exec_lo, s0
	s_cbranch_execz .LBB12_21
; %bb.20:
	ds_load_2addr_stride64_b32 v[4:5], v2 offset1:1
	s_wait_dscnt 0x0
	v_min_i32_e32 v4, v4, v5
	ds_store_b32 v2, v4
.LBB12_21:
	s_or_b32 exec_lo, exec_lo, s8
.LBB12_22:
	s_delay_alu instid0(SALU_CYCLE_1) | instskip(SKIP_4) | instid1(SALU_CYCLE_1)
	s_or_b32 exec_lo, exec_lo, s2
	s_wait_dscnt 0x0
	s_barrier_signal -1
	s_barrier_wait -1
	s_and_saveexec_b32 s0, vcc_lo
	s_xor_b32 s2, exec_lo, s0
	s_cbranch_execz .LBB12_27
; %bb.23:
	s_mov_b32 s8, exec_lo
	v_cmpx_gt_u32_e32 0xa0, v0
	s_cbranch_execz .LBB12_26
; %bb.24:
	v_add_nc_u32_e32 v4, 0xffffffa0, v0
	s_delay_alu instid0(VALU_DEP_1)
	v_cmp_gt_i32_e64 s0, s1, v4
	s_and_b32 exec_lo, exec_lo, s0
	s_cbranch_execz .LBB12_26
; %bb.25:
	v_add_nc_u32_e32 v4, 0xfffffe80, v3
	ds_load_b32 v5, v1
	ds_load_b32 v4, v4
	s_wait_dscnt 0x0
	v_max_i32_e32 v4, v5, v4
	ds_store_b32 v1, v4
.LBB12_26:
	s_or_b32 exec_lo, exec_lo, s8
.LBB12_27:
	s_and_not1_saveexec_b32 s2, s2
	s_cbranch_execz .LBB12_32
; %bb.28:
	s_mov_b32 s8, exec_lo
	v_cmpx_gt_u32_e32 32, v0
	s_cbranch_execz .LBB12_31
; %bb.29:
	v_or_b32_e32 v4, 32, v0
	s_delay_alu instid0(VALU_DEP_1)
	v_cmp_gt_i32_e64 s0, s1, v4
	s_and_b32 exec_lo, exec_lo, s0
	s_cbranch_execz .LBB12_31
; %bb.30:
	ds_load_2addr_b32 v[4:5], v2 offset1:32
	s_wait_dscnt 0x0
	v_min_i32_e32 v4, v4, v5
	ds_store_b32 v2, v4
.LBB12_31:
	s_or_b32 exec_lo, exec_lo, s8
.LBB12_32:
	s_delay_alu instid0(SALU_CYCLE_1) | instskip(SKIP_4) | instid1(SALU_CYCLE_1)
	s_or_b32 exec_lo, exec_lo, s2
	s_wait_dscnt 0x0
	s_barrier_signal -1
	s_barrier_wait -1
	s_and_saveexec_b32 s0, vcc_lo
	s_xor_b32 s2, exec_lo, s0
	s_cbranch_execz .LBB12_37
; %bb.33:
	s_mov_b32 s8, exec_lo
	v_cmpx_gt_u32_e32 0x90, v0
	s_cbranch_execz .LBB12_36
; %bb.34:
	v_add_nc_u32_e32 v4, 0xffffff90, v0
	s_delay_alu instid0(VALU_DEP_1)
	v_cmp_gt_i32_e64 s0, s1, v4
	s_and_b32 exec_lo, exec_lo, s0
	s_cbranch_execz .LBB12_36
; %bb.35:
	v_add_nc_u32_e32 v4, 0xfffffe40, v3
	ds_load_b32 v5, v1
	ds_load_b32 v4, v4
	s_wait_dscnt 0x0
	v_max_i32_e32 v4, v5, v4
	ds_store_b32 v1, v4
.LBB12_36:
	s_or_b32 exec_lo, exec_lo, s8
.LBB12_37:
	s_and_not1_saveexec_b32 s2, s2
	s_cbranch_execz .LBB12_42
; %bb.38:
	s_mov_b32 s8, exec_lo
	v_cmpx_gt_u32_e32 16, v0
	s_cbranch_execz .LBB12_41
; %bb.39:
	v_or_b32_e32 v4, 16, v0
	s_delay_alu instid0(VALU_DEP_1)
	v_cmp_gt_i32_e64 s0, s1, v4
	s_and_b32 exec_lo, exec_lo, s0
	s_cbranch_execz .LBB12_41
; %bb.40:
	ds_load_2addr_b32 v[4:5], v2 offset1:16
	s_wait_dscnt 0x0
	v_min_i32_e32 v4, v4, v5
	ds_store_b32 v2, v4
.LBB12_41:
	s_or_b32 exec_lo, exec_lo, s8
.LBB12_42:
	;; [unrolled: 48-line block ×5, first 2 shown]
	s_delay_alu instid0(SALU_CYCLE_1)
	s_or_b32 exec_lo, exec_lo, s2
	s_cmp_gt_i32 s1, 1
	s_wait_dscnt 0x0
	s_cselect_b32 s0, -1, 0
	s_barrier_signal -1
	s_barrier_wait -1
	s_and_saveexec_b32 s1, vcc_lo
	s_delay_alu instid0(SALU_CYCLE_1)
	s_xor_b32 s1, exec_lo, s1
	s_cbranch_execz .LBB12_76
; %bb.73:
	v_cmp_eq_u32_e32 vcc_lo, 0x80, v0
	s_and_b32 s8, vcc_lo, s0
	s_delay_alu instid0(SALU_CYCLE_1)
	s_and_saveexec_b32 s2, s8
	s_cbranch_execz .LBB12_75
; %bb.74:
	v_mov_b32_e32 v2, 0
	ds_load_b32 v3, v1
	ds_load_b32 v2, v2 offset:4
	s_wait_dscnt 0x0
	v_max_i32_e32 v2, v3, v2
	ds_store_b32 v1, v2
.LBB12_75:
	s_or_b32 exec_lo, exec_lo, s2
                                        ; implicit-def: $vgpr2
.LBB12_76:
	s_and_not1_saveexec_b32 s1, s1
	s_cbranch_execz .LBB12_80
; %bb.77:
	v_cmp_eq_u32_e32 vcc_lo, 0, v0
	s_and_b32 s2, vcc_lo, s0
	s_delay_alu instid0(SALU_CYCLE_1)
	s_and_saveexec_b32 s0, s2
	s_cbranch_execz .LBB12_79
; %bb.78:
	v_mov_b32_e32 v1, 0
	ds_load_b32 v3, v2
	ds_load_b32 v1, v1 offset:1028
	s_wait_dscnt 0x0
	v_min_i32_e32 v1, v3, v1
	ds_store_b32 v2, v1
.LBB12_79:
	s_or_b32 exec_lo, exec_lo, s0
.LBB12_80:
	s_delay_alu instid0(SALU_CYCLE_1)
	s_or_b32 exec_lo, exec_lo, s1
	s_wait_dscnt 0x0
	s_barrier_signal -1
	s_barrier_wait -1
	s_mov_b32 s0, exec_lo
	v_cmpx_eq_u32_e32 0, v0
	s_cbranch_execz .LBB12_82
; %bb.81:
	v_dual_mov_b32 v0, 0 :: v_dual_mov_b32 v2, s3
	ds_load_2addr_stride64_b32 v[0:1], v0 offset1:4
	s_wait_dscnt 0x0
	s_clause 0x1
	global_store_b32 v2, v1, s[4:5] scale_offset
	global_store_b32 v2, v0, s[6:7] scale_offset
.LBB12_82:
	s_endpgm
.LBB12_83:
.LBB12_84:
	s_load_b32 s0, s[0:1], 0x20
	s_wait_xcnt 0x0
	s_lshl_b32 s1, s3, 8
	v_dual_mov_b32 v1, 0 :: v_dual_mov_b32 v2, 0
	v_add_nc_u32_e32 v3, s1, v0
	s_mov_b32 s11, 0
	s_sub_co_i32 s2, s2, s1
	s_mov_b32 s1, 0
	s_wait_kmcnt 0x0
	s_lshl_b32 s12, s0, 8
	s_branch .LBB12_86
.LBB12_85:                              ;   in Loop: Header=BB12_86 Depth=1
	s_or_b32 exec_lo, exec_lo, s14
	s_add_co_i32 s11, s11, s0
	v_add_nc_u32_e32 v3, s12, v3
	s_max_i32 s1, s1, s13
	s_add_co_i32 s13, s3, s11
	s_sub_co_i32 s2, s2, s12
	s_cmp_ge_i32 s13, s10
	s_cbranch_scc1 .LBB12_4
.LBB12_86:                              ; =>This Inner Loop Header: Depth=1
	s_min_i32 s13, s2, 0x100
	s_mov_b32 s14, exec_lo
	v_cmpx_gt_u32_e64 s13, v0
	s_cbranch_execz .LBB12_85
; %bb.87:                               ;   in Loop: Header=BB12_86 Depth=1
	global_load_b32 v4, v3, s[8:9] scale_offset
	s_cmp_eq_u32 s11, 0
	s_cselect_b32 vcc_lo, -1, 0
	s_wait_loadcnt 0x0
	v_min_i32_e32 v1, v4, v1
	s_delay_alu instid0(VALU_DEP_1) | instskip(NEXT) | instid1(VALU_DEP_1)
	v_dual_cndmask_b32 v1, v1, v4 :: v_dual_max_i32 v2, v4, v2
	v_cndmask_b32_e32 v2, v2, v4, vcc_lo
	s_branch .LBB12_85
	.section	.rodata,"a",@progbits
	.p2align	6, 0x0
	.amdhsa_kernel _Z23bitPackConfigScanKernelIiiEvPT_S1_PKT0_PKm
		.amdhsa_group_segment_fixed_size 2048
		.amdhsa_private_segment_fixed_size 0
		.amdhsa_kernarg_size 288
		.amdhsa_user_sgpr_count 2
		.amdhsa_user_sgpr_dispatch_ptr 0
		.amdhsa_user_sgpr_queue_ptr 0
		.amdhsa_user_sgpr_kernarg_segment_ptr 1
		.amdhsa_user_sgpr_dispatch_id 0
		.amdhsa_user_sgpr_kernarg_preload_length 0
		.amdhsa_user_sgpr_kernarg_preload_offset 0
		.amdhsa_user_sgpr_private_segment_size 0
		.amdhsa_wavefront_size32 1
		.amdhsa_uses_dynamic_stack 0
		.amdhsa_enable_private_segment 0
		.amdhsa_system_sgpr_workgroup_id_x 1
		.amdhsa_system_sgpr_workgroup_id_y 0
		.amdhsa_system_sgpr_workgroup_id_z 0
		.amdhsa_system_sgpr_workgroup_info 0
		.amdhsa_system_vgpr_workitem_id 0
		.amdhsa_next_free_vgpr 6
		.amdhsa_next_free_sgpr 15
		.amdhsa_named_barrier_count 0
		.amdhsa_reserve_vcc 1
		.amdhsa_float_round_mode_32 0
		.amdhsa_float_round_mode_16_64 0
		.amdhsa_float_denorm_mode_32 3
		.amdhsa_float_denorm_mode_16_64 3
		.amdhsa_fp16_overflow 0
		.amdhsa_memory_ordered 1
		.amdhsa_forward_progress 1
		.amdhsa_inst_pref_size 15
		.amdhsa_round_robin_scheduling 0
		.amdhsa_exception_fp_ieee_invalid_op 0
		.amdhsa_exception_fp_denorm_src 0
		.amdhsa_exception_fp_ieee_div_zero 0
		.amdhsa_exception_fp_ieee_overflow 0
		.amdhsa_exception_fp_ieee_underflow 0
		.amdhsa_exception_fp_ieee_inexact 0
		.amdhsa_exception_int_div_zero 0
	.end_amdhsa_kernel
	.section	.text._Z23bitPackConfigScanKernelIiiEvPT_S1_PKT0_PKm,"axG",@progbits,_Z23bitPackConfigScanKernelIiiEvPT_S1_PKT0_PKm,comdat
.Lfunc_end12:
	.size	_Z23bitPackConfigScanKernelIiiEvPT_S1_PKT0_PKm, .Lfunc_end12-_Z23bitPackConfigScanKernelIiiEvPT_S1_PKT0_PKm
                                        ; -- End function
	.set _Z23bitPackConfigScanKernelIiiEvPT_S1_PKT0_PKm.num_vgpr, 6
	.set _Z23bitPackConfigScanKernelIiiEvPT_S1_PKT0_PKm.num_agpr, 0
	.set _Z23bitPackConfigScanKernelIiiEvPT_S1_PKT0_PKm.numbered_sgpr, 15
	.set _Z23bitPackConfigScanKernelIiiEvPT_S1_PKT0_PKm.num_named_barrier, 0
	.set _Z23bitPackConfigScanKernelIiiEvPT_S1_PKT0_PKm.private_seg_size, 0
	.set _Z23bitPackConfigScanKernelIiiEvPT_S1_PKT0_PKm.uses_vcc, 1
	.set _Z23bitPackConfigScanKernelIiiEvPT_S1_PKT0_PKm.uses_flat_scratch, 0
	.set _Z23bitPackConfigScanKernelIiiEvPT_S1_PKT0_PKm.has_dyn_sized_stack, 0
	.set _Z23bitPackConfigScanKernelIiiEvPT_S1_PKT0_PKm.has_recursion, 0
	.set _Z23bitPackConfigScanKernelIiiEvPT_S1_PKT0_PKm.has_indirect_call, 0
	.section	.AMDGPU.csdata,"",@progbits
; Kernel info:
; codeLenInByte = 1880
; TotalNumSgprs: 17
; NumVgprs: 6
; ScratchSize: 0
; MemoryBound: 0
; FloatMode: 240
; IeeeMode: 1
; LDSByteSize: 2048 bytes/workgroup (compile time only)
; SGPRBlocks: 0
; VGPRBlocks: 0
; NumSGPRsForWavesPerEU: 17
; NumVGPRsForWavesPerEU: 6
; NamedBarCnt: 0
; Occupancy: 16
; WaveLimiterHint : 0
; COMPUTE_PGM_RSRC2:SCRATCH_EN: 0
; COMPUTE_PGM_RSRC2:USER_SGPR: 2
; COMPUTE_PGM_RSRC2:TRAP_HANDLER: 0
; COMPUTE_PGM_RSRC2:TGID_X_EN: 1
; COMPUTE_PGM_RSRC2:TGID_Y_EN: 0
; COMPUTE_PGM_RSRC2:TGID_Z_EN: 0
; COMPUTE_PGM_RSRC2:TIDIG_COMP_CNT: 0
	.section	.text._Z27bitPackConfigFinalizeKernelIiiEvPKT_S2_PhPT0_PKm,"axG",@progbits,_Z27bitPackConfigFinalizeKernelIiiEvPKT_S2_PhPT0_PKm,comdat
	.protected	_Z27bitPackConfigFinalizeKernelIiiEvPKT_S2_PhPT0_PKm ; -- Begin function _Z27bitPackConfigFinalizeKernelIiiEvPKT_S2_PhPT0_PKm
	.globl	_Z27bitPackConfigFinalizeKernelIiiEvPKT_S2_PhPT0_PKm
	.p2align	8
	.type	_Z27bitPackConfigFinalizeKernelIiiEvPKT_S2_PhPT0_PKm,@function
_Z27bitPackConfigFinalizeKernelIiiEvPKT_S2_PhPT0_PKm: ; @_Z27bitPackConfigFinalizeKernelIiiEvPKT_S2_PhPT0_PKm
; %bb.0:
	s_load_b64 s[2:3], s[0:1], 0x20
	s_wait_kmcnt 0x0
	s_load_b64 s[2:3], s[2:3], 0x0
	s_wait_kmcnt 0x0
	s_and_b64 s[4:5], s[2:3], 0xff
	s_lshr_b64 s[2:3], s[2:3], 8
	s_cmp_lg_u64 s[4:5], 0
	s_mov_b32 s4, 0
	s_cselect_b32 s5, -1, 0
	v_mov_b32_e32 v3, s4
	v_cndmask_b32_e64 v2, 0, 1, s5
	s_load_b256 s[4:11], s[0:1], 0x0
	s_wait_xcnt 0x0
	s_mov_b32 s1, exec_lo
	s_delay_alu instid0(VALU_DEP_1) | instskip(NEXT) | instid1(VALU_DEP_1)
	v_add_nc_u64_e32 v[2:3], s[2:3], v[2:3]
	v_min_u64 v[4:5], 0x1000, v[2:3]
	s_delay_alu instid0(VALU_DEP_1)
	v_cmpx_lt_u32_e64 v0, v4
	s_cbranch_execz .LBB13_6
; %bb.1:
	s_wait_kmcnt 0x0
	s_clause 0x1
	global_load_b32 v1, v0, s[4:5] scale_offset
	global_load_b32 v5, v0, s[6:7] scale_offset
	v_add_nc_u32_e32 v10, 0x100, v0
	s_mov_b32 s2, exec_lo
	s_wait_xcnt 0x0
	s_delay_alu instid0(VALU_DEP_1)
	v_cmpx_lt_u32_e64 v10, v4
	s_cbranch_execz .LBB13_5
; %bb.2:
	v_dual_mov_b32 v7, 0 :: v_dual_lshlrev_b32 v6, 2, v0
	s_mov_b32 s3, 0
	s_delay_alu instid0(VALU_DEP_1) | instskip(NEXT) | instid1(VALU_DEP_1)
	v_add_nc_u64_e32 v[8:9], 0x400, v[6:7]
	v_add_nc_u64_e32 v[6:7], s[4:5], v[8:9]
	;; [unrolled: 1-line block ×3, first 2 shown]
.LBB13_3:                               ; =>This Inner Loop Header: Depth=1
	global_load_b32 v11, v[6:7], off
	global_load_b32 v12, v[8:9], off
	v_add_nc_u32_e32 v13, 0x100, v10
	v_cmp_lt_u32_e32 vcc_lo, 0xeff, v10
	s_wait_xcnt 0x1
	v_add_nc_u64_e32 v[6:7], 0x400, v[6:7]
	s_wait_xcnt 0x0
	v_add_nc_u64_e32 v[8:9], 0x400, v[8:9]
	v_cmp_ge_u32_e64 s0, v13, v4
	v_mov_b32_e32 v10, v13
	s_or_b32 s0, vcc_lo, s0
	s_delay_alu instid0(SALU_CYCLE_1) | instskip(NEXT) | instid1(SALU_CYCLE_1)
	s_and_b32 s0, exec_lo, s0
	s_or_b32 s3, s0, s3
	s_wait_loadcnt 0x1
	v_min_i32_e32 v1, v11, v1
	s_wait_loadcnt 0x0
	v_max_i32_e32 v5, v12, v5
	s_and_not1_b32 exec_lo, exec_lo, s3
	s_cbranch_execnz .LBB13_3
; %bb.4:
	s_or_b32 exec_lo, exec_lo, s3
.LBB13_5:
	s_delay_alu instid0(SALU_CYCLE_1)
	s_or_b32 exec_lo, exec_lo, s2
	v_lshlrev_b32_e32 v6, 2, v0
	s_wait_loadcnt 0x0
	ds_store_2addr_stride64_b32 v6, v5, v1 offset1:4
.LBB13_6:
	s_or_b32 exec_lo, exec_lo, s1
	v_lshlrev_b32_e32 v6, 2, v0
	v_min_u32_e32 v5, 0x100, v4
	v_cmp_lt_u32_e32 vcc_lo, 0x7f, v0
	s_wait_dscnt 0x0
	s_barrier_signal -1
	v_add_nc_u32_e32 v1, 0xfffffe00, v6
	s_barrier_wait -1
	s_and_saveexec_b32 s0, vcc_lo
	s_delay_alu instid0(SALU_CYCLE_1)
	s_xor_b32 s1, exec_lo, s0
	s_cbranch_execz .LBB13_10
; %bb.7:
	s_mov_b32 s2, exec_lo
	v_cmpx_lt_u32_e64 v0, v5
	s_cbranch_execz .LBB13_9
; %bb.8:
	ds_load_b32 v4, v1
	ds_load_b32 v7, v6
	s_wait_dscnt 0x0
	v_max_i32_e32 v4, v4, v7
	ds_store_b32 v1, v4
.LBB13_9:
	s_or_b32 exec_lo, exec_lo, s2
.LBB13_10:
	s_or_saveexec_b32 s1, s1
	v_add_nc_u32_e32 v4, 0x400, v6
	s_xor_b32 exec_lo, exec_lo, s1
	s_cbranch_execz .LBB13_14
; %bb.11:
	v_or_b32_e32 v7, 0x80, v0
	s_mov_b32 s2, exec_lo
	s_delay_alu instid0(VALU_DEP_1)
	v_cmpx_lt_u32_e64 v7, v5
	s_cbranch_execz .LBB13_13
; %bb.12:
	ds_load_2addr_stride64_b32 v[8:9], v4 offset1:2
	s_wait_dscnt 0x0
	v_min_i32_e32 v7, v8, v9
	ds_store_b32 v4, v7
.LBB13_13:
	s_or_b32 exec_lo, exec_lo, s2
.LBB13_14:
	s_delay_alu instid0(SALU_CYCLE_1) | instskip(SKIP_4) | instid1(SALU_CYCLE_1)
	s_or_b32 exec_lo, exec_lo, s1
	s_wait_dscnt 0x0
	s_barrier_signal -1
	s_barrier_wait -1
	s_and_saveexec_b32 s0, vcc_lo
	s_xor_b32 s1, exec_lo, s0
	s_cbranch_execz .LBB13_19
; %bb.15:
	s_mov_b32 s2, exec_lo
	v_cmpx_gt_u32_e32 0xc0, v0
	s_cbranch_execz .LBB13_18
; %bb.16:
	v_subrev_nc_u32_e32 v7, 64, v0
	s_delay_alu instid0(VALU_DEP_1)
	v_cmp_lt_u32_e64 s0, v7, v5
	s_and_b32 exec_lo, exec_lo, s0
	s_cbranch_execz .LBB13_18
; %bb.17:
	v_add_nc_u32_e32 v7, 0xffffff00, v6
	ds_load_b32 v8, v1
	ds_load_b32 v7, v7
	s_wait_dscnt 0x0
	v_max_i32_e32 v7, v8, v7
	ds_store_b32 v1, v7
.LBB13_18:
	s_or_b32 exec_lo, exec_lo, s2
.LBB13_19:
	s_and_not1_saveexec_b32 s1, s1
	s_cbranch_execz .LBB13_24
; %bb.20:
	s_mov_b32 s2, exec_lo
	v_cmpx_gt_u32_e32 64, v0
	s_cbranch_execz .LBB13_23
; %bb.21:
	v_or_b32_e32 v7, 64, v0
	s_delay_alu instid0(VALU_DEP_1)
	v_cmp_lt_u32_e64 s0, v7, v5
	s_and_b32 exec_lo, exec_lo, s0
	s_cbranch_execz .LBB13_23
; %bb.22:
	ds_load_2addr_stride64_b32 v[8:9], v4 offset1:1
	s_wait_dscnt 0x0
	v_min_i32_e32 v7, v8, v9
	ds_store_b32 v4, v7
.LBB13_23:
	s_or_b32 exec_lo, exec_lo, s2
.LBB13_24:
	s_delay_alu instid0(SALU_CYCLE_1) | instskip(SKIP_4) | instid1(SALU_CYCLE_1)
	s_or_b32 exec_lo, exec_lo, s1
	s_wait_dscnt 0x0
	s_barrier_signal -1
	s_barrier_wait -1
	s_and_saveexec_b32 s0, vcc_lo
	s_xor_b32 s1, exec_lo, s0
	s_cbranch_execz .LBB13_29
; %bb.25:
	s_mov_b32 s2, exec_lo
	v_cmpx_gt_u32_e32 0xa0, v0
	s_cbranch_execz .LBB13_28
; %bb.26:
	v_add_nc_u32_e32 v7, 0xffffffa0, v0
	s_delay_alu instid0(VALU_DEP_1)
	v_cmp_lt_u32_e64 s0, v7, v5
	s_and_b32 exec_lo, exec_lo, s0
	s_cbranch_execz .LBB13_28
; %bb.27:
	v_add_nc_u32_e32 v7, 0xfffffe80, v6
	ds_load_b32 v8, v1
	ds_load_b32 v7, v7
	s_wait_dscnt 0x0
	v_max_i32_e32 v7, v8, v7
	ds_store_b32 v1, v7
.LBB13_28:
	s_or_b32 exec_lo, exec_lo, s2
.LBB13_29:
	s_and_not1_saveexec_b32 s1, s1
	s_cbranch_execz .LBB13_34
; %bb.30:
	s_mov_b32 s2, exec_lo
	v_cmpx_gt_u32_e32 32, v0
	s_cbranch_execz .LBB13_33
; %bb.31:
	v_or_b32_e32 v7, 32, v0
	s_delay_alu instid0(VALU_DEP_1)
	v_cmp_lt_u32_e64 s0, v7, v5
	s_and_b32 exec_lo, exec_lo, s0
	s_cbranch_execz .LBB13_33
; %bb.32:
	ds_load_2addr_b32 v[8:9], v4 offset1:32
	s_wait_dscnt 0x0
	v_min_i32_e32 v7, v8, v9
	ds_store_b32 v4, v7
.LBB13_33:
	s_or_b32 exec_lo, exec_lo, s2
.LBB13_34:
	s_delay_alu instid0(SALU_CYCLE_1) | instskip(SKIP_4) | instid1(SALU_CYCLE_1)
	s_or_b32 exec_lo, exec_lo, s1
	s_wait_dscnt 0x0
	s_barrier_signal -1
	s_barrier_wait -1
	s_and_saveexec_b32 s0, vcc_lo
	s_xor_b32 s1, exec_lo, s0
	s_cbranch_execz .LBB13_39
; %bb.35:
	s_mov_b32 s2, exec_lo
	v_cmpx_gt_u32_e32 0x90, v0
	s_cbranch_execz .LBB13_38
; %bb.36:
	v_add_nc_u32_e32 v7, 0xffffff90, v0
	s_delay_alu instid0(VALU_DEP_1)
	v_cmp_lt_u32_e64 s0, v7, v5
	s_and_b32 exec_lo, exec_lo, s0
	s_cbranch_execz .LBB13_38
; %bb.37:
	v_add_nc_u32_e32 v7, 0xfffffe40, v6
	ds_load_b32 v8, v1
	ds_load_b32 v7, v7
	s_wait_dscnt 0x0
	v_max_i32_e32 v7, v8, v7
	ds_store_b32 v1, v7
.LBB13_38:
	s_or_b32 exec_lo, exec_lo, s2
.LBB13_39:
	s_and_not1_saveexec_b32 s1, s1
	s_cbranch_execz .LBB13_44
; %bb.40:
	s_mov_b32 s2, exec_lo
	v_cmpx_gt_u32_e32 16, v0
	s_cbranch_execz .LBB13_43
; %bb.41:
	v_or_b32_e32 v7, 16, v0
	s_delay_alu instid0(VALU_DEP_1)
	v_cmp_lt_u32_e64 s0, v7, v5
	s_and_b32 exec_lo, exec_lo, s0
	s_cbranch_execz .LBB13_43
; %bb.42:
	ds_load_2addr_b32 v[8:9], v4 offset1:16
	s_wait_dscnt 0x0
	v_min_i32_e32 v7, v8, v9
	ds_store_b32 v4, v7
.LBB13_43:
	s_or_b32 exec_lo, exec_lo, s2
.LBB13_44:
	;; [unrolled: 48-line block ×4, first 2 shown]
	s_delay_alu instid0(SALU_CYCLE_1) | instskip(SKIP_4) | instid1(SALU_CYCLE_1)
	s_or_b32 exec_lo, exec_lo, s1
	s_wait_dscnt 0x0
	s_barrier_signal -1
	s_barrier_wait -1
	s_and_saveexec_b32 s0, vcc_lo
	s_xor_b32 s1, exec_lo, s0
	s_cbranch_execz .LBB13_69
; %bb.65:
	s_mov_b32 s2, exec_lo
	v_cmpx_gt_u32_e32 0x82, v0
	s_cbranch_execz .LBB13_68
; %bb.66:
	v_add_nc_u32_e32 v7, 0xffffff82, v0
	s_delay_alu instid0(VALU_DEP_1)
	v_cmp_lt_u32_e64 s0, v7, v5
	s_and_b32 exec_lo, exec_lo, s0
	s_cbranch_execz .LBB13_68
; %bb.67:
	v_add_nc_u32_e32 v5, 0xfffffe08, v6
	ds_load_b32 v6, v1
	ds_load_b32 v5, v5
	s_wait_dscnt 0x0
	v_max_i32_e32 v5, v6, v5
	ds_store_b32 v1, v5
.LBB13_68:
	s_or_b32 exec_lo, exec_lo, s2
                                        ; implicit-def: $vgpr5
.LBB13_69:
	s_and_not1_saveexec_b32 s1, s1
	s_cbranch_execz .LBB13_74
; %bb.70:
	s_mov_b32 s2, exec_lo
	v_cmpx_gt_u32_e32 2, v0
	s_cbranch_execz .LBB13_73
; %bb.71:
	v_or_b32_e32 v6, 2, v0
	s_delay_alu instid0(VALU_DEP_1)
	v_cmp_lt_u32_e64 s0, v6, v5
	s_and_b32 exec_lo, exec_lo, s0
	s_cbranch_execz .LBB13_73
; %bb.72:
	ds_load_2addr_b32 v[6:7], v4 offset1:2
	s_wait_dscnt 0x0
	v_min_i32_e32 v5, v6, v7
	ds_store_b32 v4, v5
.LBB13_73:
	s_or_b32 exec_lo, exec_lo, s2
.LBB13_74:
	s_delay_alu instid0(SALU_CYCLE_1)
	s_or_b32 exec_lo, exec_lo, s1
	v_cmp_lt_u64_e64 s0, 1, v[2:3]
	s_wait_dscnt 0x0
	s_barrier_signal -1
	s_barrier_wait -1
	s_and_saveexec_b32 s1, vcc_lo
	s_delay_alu instid0(SALU_CYCLE_1)
	s_xor_b32 s1, exec_lo, s1
	s_cbranch_execz .LBB13_78
; %bb.75:
	v_cmp_eq_u32_e32 vcc_lo, 0x80, v0
	s_and_b32 s3, vcc_lo, s0
	s_delay_alu instid0(SALU_CYCLE_1)
	s_and_saveexec_b32 s2, s3
	s_cbranch_execz .LBB13_77
; %bb.76:
	v_mov_b32_e32 v2, 0
	ds_load_b32 v3, v1
	ds_load_b32 v2, v2 offset:4
	s_wait_dscnt 0x0
	v_max_i32_e32 v2, v3, v2
	ds_store_b32 v1, v2
.LBB13_77:
	s_or_b32 exec_lo, exec_lo, s2
                                        ; implicit-def: $vgpr4
.LBB13_78:
	s_and_not1_saveexec_b32 s1, s1
	s_cbranch_execz .LBB13_82
; %bb.79:
	v_cmp_eq_u32_e32 vcc_lo, 0, v0
	s_and_b32 s2, vcc_lo, s0
	s_delay_alu instid0(SALU_CYCLE_1)
	s_and_saveexec_b32 s0, s2
	s_cbranch_execz .LBB13_81
; %bb.80:
	v_mov_b32_e32 v1, 0
	ds_load_b32 v2, v4
	ds_load_b32 v1, v1 offset:1028
	s_wait_dscnt 0x0
	v_min_i32_e32 v1, v2, v1
	ds_store_b32 v4, v1
.LBB13_81:
	s_or_b32 exec_lo, exec_lo, s0
.LBB13_82:
	s_delay_alu instid0(SALU_CYCLE_1)
	s_or_b32 exec_lo, exec_lo, s1
	s_wait_dscnt 0x0
	s_barrier_signal -1
	s_barrier_wait -1
	s_mov_b32 s0, exec_lo
	v_cmpx_eq_u32_e32 0, v0
	s_cbranch_execz .LBB13_84
; %bb.83:
	v_mov_b32_e32 v2, 0
	ds_load_2addr_stride64_b32 v[0:1], v2 offset1:4
	s_wait_dscnt 0x0
	v_sub_nc_u32_e32 v0, v0, v1
	s_delay_alu instid0(VALU_DEP_1) | instskip(NEXT) | instid1(VALU_DEP_1)
	v_clz_i32_u32_e32 v0, v0
	v_min_u32_e32 v0, 0xffff, v0
	s_delay_alu instid0(VALU_DEP_1)
	v_sub_nc_u16 v0, 32, v0 clamp
	s_wait_kmcnt 0x0
	s_clause 0x1
	global_store_b32 v2, v1, s[10:11]
	global_store_b8 v2, v0, s[8:9]
.LBB13_84:
	s_endpgm
	.section	.rodata,"a",@progbits
	.p2align	6, 0x0
	.amdhsa_kernel _Z27bitPackConfigFinalizeKernelIiiEvPKT_S2_PhPT0_PKm
		.amdhsa_group_segment_fixed_size 2048
		.amdhsa_private_segment_fixed_size 0
		.amdhsa_kernarg_size 40
		.amdhsa_user_sgpr_count 2
		.amdhsa_user_sgpr_dispatch_ptr 0
		.amdhsa_user_sgpr_queue_ptr 0
		.amdhsa_user_sgpr_kernarg_segment_ptr 1
		.amdhsa_user_sgpr_dispatch_id 0
		.amdhsa_user_sgpr_kernarg_preload_length 0
		.amdhsa_user_sgpr_kernarg_preload_offset 0
		.amdhsa_user_sgpr_private_segment_size 0
		.amdhsa_wavefront_size32 1
		.amdhsa_uses_dynamic_stack 0
		.amdhsa_enable_private_segment 0
		.amdhsa_system_sgpr_workgroup_id_x 1
		.amdhsa_system_sgpr_workgroup_id_y 0
		.amdhsa_system_sgpr_workgroup_id_z 0
		.amdhsa_system_sgpr_workgroup_info 0
		.amdhsa_system_vgpr_workitem_id 0
		.amdhsa_next_free_vgpr 14
		.amdhsa_next_free_sgpr 12
		.amdhsa_named_barrier_count 0
		.amdhsa_reserve_vcc 1
		.amdhsa_float_round_mode_32 0
		.amdhsa_float_round_mode_16_64 0
		.amdhsa_float_denorm_mode_32 3
		.amdhsa_float_denorm_mode_16_64 3
		.amdhsa_fp16_overflow 0
		.amdhsa_memory_ordered 1
		.amdhsa_forward_progress 1
		.amdhsa_inst_pref_size 16
		.amdhsa_round_robin_scheduling 0
		.amdhsa_exception_fp_ieee_invalid_op 0
		.amdhsa_exception_fp_denorm_src 0
		.amdhsa_exception_fp_ieee_div_zero 0
		.amdhsa_exception_fp_ieee_overflow 0
		.amdhsa_exception_fp_ieee_underflow 0
		.amdhsa_exception_fp_ieee_inexact 0
		.amdhsa_exception_int_div_zero 0
	.end_amdhsa_kernel
	.section	.text._Z27bitPackConfigFinalizeKernelIiiEvPKT_S2_PhPT0_PKm,"axG",@progbits,_Z27bitPackConfigFinalizeKernelIiiEvPKT_S2_PhPT0_PKm,comdat
.Lfunc_end13:
	.size	_Z27bitPackConfigFinalizeKernelIiiEvPKT_S2_PhPT0_PKm, .Lfunc_end13-_Z27bitPackConfigFinalizeKernelIiiEvPKT_S2_PhPT0_PKm
                                        ; -- End function
	.set _Z27bitPackConfigFinalizeKernelIiiEvPKT_S2_PhPT0_PKm.num_vgpr, 14
	.set _Z27bitPackConfigFinalizeKernelIiiEvPKT_S2_PhPT0_PKm.num_agpr, 0
	.set _Z27bitPackConfigFinalizeKernelIiiEvPKT_S2_PhPT0_PKm.numbered_sgpr, 12
	.set _Z27bitPackConfigFinalizeKernelIiiEvPKT_S2_PhPT0_PKm.num_named_barrier, 0
	.set _Z27bitPackConfigFinalizeKernelIiiEvPKT_S2_PhPT0_PKm.private_seg_size, 0
	.set _Z27bitPackConfigFinalizeKernelIiiEvPKT_S2_PhPT0_PKm.uses_vcc, 1
	.set _Z27bitPackConfigFinalizeKernelIiiEvPKT_S2_PhPT0_PKm.uses_flat_scratch, 0
	.set _Z27bitPackConfigFinalizeKernelIiiEvPKT_S2_PhPT0_PKm.has_dyn_sized_stack, 0
	.set _Z27bitPackConfigFinalizeKernelIiiEvPKT_S2_PhPT0_PKm.has_recursion, 0
	.set _Z27bitPackConfigFinalizeKernelIiiEvPKT_S2_PhPT0_PKm.has_indirect_call, 0
	.section	.AMDGPU.csdata,"",@progbits
; Kernel info:
; codeLenInByte = 1980
; TotalNumSgprs: 14
; NumVgprs: 14
; ScratchSize: 0
; MemoryBound: 0
; FloatMode: 240
; IeeeMode: 1
; LDSByteSize: 2048 bytes/workgroup (compile time only)
; SGPRBlocks: 0
; VGPRBlocks: 0
; NumSGPRsForWavesPerEU: 14
; NumVGPRsForWavesPerEU: 14
; NamedBarCnt: 0
; Occupancy: 16
; WaveLimiterHint : 0
; COMPUTE_PGM_RSRC2:SCRATCH_EN: 0
; COMPUTE_PGM_RSRC2:USER_SGPR: 2
; COMPUTE_PGM_RSRC2:TRAP_HANDLER: 0
; COMPUTE_PGM_RSRC2:TGID_X_EN: 1
; COMPUTE_PGM_RSRC2:TGID_Y_EN: 0
; COMPUTE_PGM_RSRC2:TGID_Z_EN: 0
; COMPUTE_PGM_RSRC2:TIDIG_COMP_CNT: 0
	.section	.text._Z13bitPackKernelIijEvPKhPKT_PT0_S4_PKm,"axG",@progbits,_Z13bitPackKernelIijEvPKhPKT_PT0_S4_PKm,comdat
	.protected	_Z13bitPackKernelIijEvPKhPKT_PT0_S4_PKm ; -- Begin function _Z13bitPackKernelIijEvPKhPKT_PT0_S4_PKm
	.globl	_Z13bitPackKernelIijEvPKhPKT_PT0_S4_PKm
	.p2align	8
	.type	_Z13bitPackKernelIijEvPKhPKT_PT0_S4_PKm,@function
_Z13bitPackKernelIijEvPKhPKT_PT0_S4_PKm: ; @_Z13bitPackKernelIijEvPKhPKT_PT0_S4_PKm
; %bb.0:
	s_load_b64 s[2:3], s[0:1], 0x20
	s_mov_b32 s13, 0
	s_wait_kmcnt 0x0
	s_load_b64 s[2:3], s[2:3], 0x0
	s_wait_kmcnt 0x0
	s_and_b64 s[4:5], s[2:3], 0xff
	s_lshr_b64 s[6:7], s[2:3], 8
	s_cmp_lg_u64 s[4:5], 0
	s_cselect_b32 s4, -1, 0
	s_delay_alu instid0(SALU_CYCLE_1)
	s_cmp_lg_u32 s4, 0
	s_add_co_ci_u32 s20, s6, 0
	s_bfe_u32 s4, ttmp6, 0x4000c
	s_and_b32 s5, ttmp6, 15
	s_add_co_i32 s4, s4, 1
	s_getreg_b32 s6, hwreg(HW_REG_IB_STS2, 6, 4)
	s_mul_i32 s4, ttmp9, s4
	s_delay_alu instid0(SALU_CYCLE_1) | instskip(SKIP_2) | instid1(SALU_CYCLE_1)
	s_add_co_i32 s5, s5, s4
	s_cmp_eq_u32 s6, 0
	s_cselect_b32 s21, ttmp9, s5
	s_cmp_ge_i32 s21, s20
	s_cbranch_scc1 .LBB14_37
; %bb.1:
	s_load_b256 s[4:11], s[0:1], 0x0
	v_mov_b32_e32 v2, 0
	s_wait_xcnt 0x0
	s_load_b32 s1, s[0:1], 0x28
	v_lshlrev_b32_e32 v5, 5, v0
	s_delay_alu instid0(VALU_DEP_1) | instskip(NEXT) | instid1(VALU_DEP_1)
	v_lshl_add_u32 v22, s21, 13, v5
	v_dual_lshlrev_b32 v23, 2, v0 :: v_dual_sub_nc_u32 v24, 0, v22
	s_wait_kmcnt 0x0
	global_load_u8 v1, v2, s[4:5]
	s_load_b32 s22, s[6:7], 0x0
	s_wait_xcnt 0x0
	s_bfe_i64 s[6:7], s[2:3], 0x200000
	s_lshl_b32 s23, s1, 13
	s_wait_loadcnt 0x0
	v_readfirstlane_b32 s12, v1
	v_and_b32_e32 v25, 0xff, v1
	s_and_b64 s[4:5], s[12:13], 0xff
	s_delay_alu instid0(SALU_CYCLE_1) | instskip(SKIP_2) | instid1(VALU_DEP_1)
	v_cvt_f32_ubyte0_e32 v3, s4
	s_sub_nc_u64 s[14:15], 0, s[4:5]
	s_sub_co_i32 s24, 0, s4
	v_fmac_f32_e64 v3, 0x4f800000, 0
	s_delay_alu instid0(VALU_DEP_1) | instskip(SKIP_1) | instid1(TRANS32_DEP_1)
	v_rcp_f32_e32 v3, v3
	v_nop
	v_mul_f32_e32 v3, 0x5f7ffffc, v3
	s_delay_alu instid0(VALU_DEP_1) | instskip(NEXT) | instid1(VALU_DEP_1)
	v_mul_f32_e32 v4, 0x2f800000, v3
	v_trunc_f32_e32 v6, v4
	s_delay_alu instid0(VALU_DEP_1) | instskip(SKIP_1) | instid1(VALU_DEP_2)
	v_fmac_f32_e32 v3, 0xcf800000, v6
	v_cvt_u32_f32_e32 v5, v6
	v_cvt_u32_f32_e32 v4, v3
	s_branch .LBB14_3
.LBB14_2:                               ;   in Loop: Header=BB14_3 Depth=1
	s_wait_xcnt 0x0
	s_or_b32 exec_lo, exec_lo, s0
	v_subrev_nc_u32_e32 v24, s23, v24
	v_add_nc_u32_e32 v22, s23, v22
	s_add_co_i32 s21, s1, s21
	s_delay_alu instid0(SALU_CYCLE_1)
	s_cmp_ge_i32 s21, s20
	s_cbranch_scc1 .LBB14_37
.LBB14_3:                               ; =>This Loop Header: Depth=1
                                        ;     Child Loop BB14_19 Depth 2
                                        ;       Child Loop BB14_24 Depth 3
                                        ;       Child Loop BB14_28 Depth 3
	s_lshl_b32 s16, s21, 8
                                        ; implicit-def: $vgpr10_vgpr11
	s_mov_b32 s0, exec_lo
	v_add_nc_u32_e32 v6, s16, v0
	s_delay_alu instid0(VALU_DEP_1) | instskip(NEXT) | instid1(VALU_DEP_1)
	v_ashrrev_i32_e32 v7, 31, v6
	v_lshlrev_b64_e32 v[8:9], 5, v[6:7]
	s_delay_alu instid0(VALU_DEP_1) | instskip(NEXT) | instid1(VALU_DEP_1)
	v_mov_b32_e32 v3, v9
	v_cmpx_ne_u64_e32 0, v[2:3]
	s_xor_b32 s12, exec_lo, s0
	s_cbranch_execz .LBB14_5
; %bb.4:                                ;   in Loop: Header=BB14_3 Depth=1
	v_mul_u64_e32 v[10:11], s[14:15], v[4:5]
	v_dual_mov_b32 v15, v2 :: v_dual_mov_b32 v17, v2
	s_delay_alu instid0(VALU_DEP_2) | instskip(SKIP_1) | instid1(VALU_DEP_4)
	v_mul_hi_u32 v13, v4, v11
	v_mul_lo_u32 v12, v4, v11
	v_mul_hi_u32 v14, v4, v10
	v_mul_lo_u32 v1, v5, v10
	v_mul_hi_u32 v3, v5, v10
	v_mul_hi_u32 v16, v5, v11
	v_mul_lo_u32 v10, v5, v11
	v_add_nc_u64_e32 v[12:13], v[14:15], v[12:13]
	s_delay_alu instid0(VALU_DEP_1) | instskip(NEXT) | instid1(VALU_DEP_2)
	v_add_co_u32 v1, vcc_lo, v12, v1
	v_add_co_ci_u32_e32 v14, vcc_lo, v13, v3, vcc_lo
	v_add_co_ci_u32_e32 v11, vcc_lo, 0, v16, vcc_lo
	s_delay_alu instid0(VALU_DEP_1) | instskip(NEXT) | instid1(VALU_DEP_1)
	v_add_nc_u64_e32 v[10:11], v[14:15], v[10:11]
	v_add_co_u32 v10, vcc_lo, v4, v10
	s_delay_alu instid0(VALU_DEP_1) | instskip(NEXT) | instid1(VALU_DEP_1)
	v_add_co_ci_u32_e64 v11, null, v5, v11, vcc_lo
	v_mul_u64_e32 v[12:13], s[14:15], v[10:11]
	s_delay_alu instid0(VALU_DEP_1) | instskip(SKIP_1) | instid1(VALU_DEP_3)
	v_mul_hi_u32 v15, v10, v13
	v_mul_lo_u32 v14, v10, v13
	v_mul_hi_u32 v16, v10, v12
	v_mul_lo_u32 v1, v11, v12
	v_mul_hi_u32 v3, v11, v12
	v_mul_hi_u32 v18, v11, v13
	v_mul_lo_u32 v12, v11, v13
	v_add_nc_u64_e32 v[14:15], v[16:17], v[14:15]
	s_delay_alu instid0(VALU_DEP_1) | instskip(NEXT) | instid1(VALU_DEP_2)
	v_add_co_u32 v1, vcc_lo, v14, v1
	v_add_co_ci_u32_e32 v16, vcc_lo, v15, v3, vcc_lo
	v_add_co_ci_u32_e32 v13, vcc_lo, 0, v18, vcc_lo
	v_mov_b32_e32 v15, v2
	s_delay_alu instid0(VALU_DEP_2) | instskip(SKIP_1) | instid1(VALU_DEP_2)
	v_add_nc_u64_e32 v[12:13], v[16:17], v[12:13]
	v_mov_b32_e32 v16, v8
	v_add_co_u32 v10, vcc_lo, v10, v12
	s_delay_alu instid0(VALU_DEP_1) | instskip(SKIP_2) | instid1(VALU_DEP_3)
	v_add_co_ci_u32_e64 v14, null, v11, v13, vcc_lo
	v_dual_mov_b32 v12, v9 :: v_dual_mov_b32 v13, v2
	v_mov_b32_e32 v11, v2
	v_mul_u64_e32 v[16:17], v[16:17], v[14:15]
	s_delay_alu instid0(VALU_DEP_2) | instskip(SKIP_2) | instid1(VALU_DEP_1)
	v_mul_u64_e32 v[18:19], v[12:13], v[10:11]
	v_mul_u64_e32 v[12:13], v[12:13], v[14:15]
	v_mul_hi_u32 v10, v8, v10
	v_add_nc_u64_e32 v[10:11], v[10:11], v[16:17]
	s_delay_alu instid0(VALU_DEP_1) | instskip(NEXT) | instid1(VALU_DEP_2)
	v_add_co_u32 v1, vcc_lo, v10, v18
	v_add_co_ci_u32_e32 v14, vcc_lo, v11, v19, vcc_lo
	v_add_co_ci_u32_e32 v13, vcc_lo, 0, v13, vcc_lo
	s_delay_alu instid0(VALU_DEP_1) | instskip(NEXT) | instid1(VALU_DEP_1)
	v_add_nc_u64_e32 v[10:11], v[14:15], v[12:13]
	v_mul_u64_e32 v[12:13], s[4:5], v[10:11]
	s_delay_alu instid0(VALU_DEP_1) | instskip(NEXT) | instid1(VALU_DEP_1)
	v_sub_co_u32 v1, vcc_lo, v8, v12
	v_sub_co_ci_u32_e64 v3, null, v9, v13, vcc_lo
	s_delay_alu instid0(VALU_DEP_2) | instskip(NEXT) | instid1(VALU_DEP_1)
	v_sub_co_u32 v12, vcc_lo, v1, s4
	v_subrev_co_ci_u32_e64 v14, null, 0, v3, vcc_lo
	v_cmp_eq_u32_e64 s0, 0, v3
	s_delay_alu instid0(VALU_DEP_3) | instskip(SKIP_3) | instid1(VALU_DEP_2)
	v_cmp_le_u32_e32 vcc_lo, s4, v12
	v_add_nc_u64_e32 v[12:13], 2, v[10:11]
	v_cndmask_b32_e64 v15, 0, -1, vcc_lo
	v_cmp_eq_u32_e32 vcc_lo, 0, v14
	v_cndmask_b32_e32 v16, -1, v15, vcc_lo
	v_cmp_le_u32_e32 vcc_lo, s4, v1
	v_add_nc_u64_e32 v[14:15], 1, v[10:11]
	v_cndmask_b32_e64 v1, 0, -1, vcc_lo
	s_delay_alu instid0(VALU_DEP_4) | instskip(NEXT) | instid1(VALU_DEP_2)
	v_cmp_ne_u32_e32 vcc_lo, 0, v16
	v_dual_cndmask_b32 v1, -1, v1, s0 :: v_dual_cndmask_b32 v12, v14, v12, vcc_lo
	s_delay_alu instid0(VALU_DEP_4) | instskip(NEXT) | instid1(VALU_DEP_2)
	v_cndmask_b32_e32 v3, v15, v13, vcc_lo
	v_cmp_ne_u32_e32 vcc_lo, 0, v1
	s_delay_alu instid0(VALU_DEP_2)
	v_dual_cndmask_b32 v10, v10, v12 :: v_dual_cndmask_b32 v11, v11, v3
.LBB14_5:                               ;   in Loop: Header=BB14_3 Depth=1
	s_or_saveexec_b32 s0, s12
	v_cvt_f32_u32_e32 v1, s4
	s_xor_b32 exec_lo, exec_lo, s0
	s_cbranch_execz .LBB14_7
; %bb.6:                                ;   in Loop: Header=BB14_3 Depth=1
	s_delay_alu instid0(VALU_DEP_1) | instskip(SKIP_1) | instid1(TRANS32_DEP_1)
	v_rcp_iflag_f32_e32 v3, v1
	v_nop
	v_mul_f32_e32 v3, 0x4f7ffffe, v3
	s_delay_alu instid0(VALU_DEP_1) | instskip(NEXT) | instid1(VALU_DEP_1)
	v_cvt_u32_f32_e32 v3, v3
	v_mul_lo_u32 v10, s24, v3
	s_delay_alu instid0(VALU_DEP_1) | instskip(NEXT) | instid1(VALU_DEP_1)
	v_mul_hi_u32 v10, v3, v10
	v_add_nc_u32_e32 v3, v3, v10
	s_delay_alu instid0(VALU_DEP_1) | instskip(NEXT) | instid1(VALU_DEP_1)
	v_mul_hi_u32 v3, v8, v3
	v_mul_lo_u32 v10, v3, s4
	s_delay_alu instid0(VALU_DEP_1) | instskip(NEXT) | instid1(VALU_DEP_1)
	v_dual_add_nc_u32 v11, 1, v3 :: v_dual_sub_nc_u32 v10, v8, v10
	v_subrev_nc_u32_e32 v12, s4, v10
	v_cmp_le_u32_e32 vcc_lo, s4, v10
	s_delay_alu instid0(VALU_DEP_2) | instskip(NEXT) | instid1(VALU_DEP_1)
	v_dual_cndmask_b32 v10, v10, v12 :: v_dual_cndmask_b32 v3, v3, v11
	v_cmp_le_u32_e32 vcc_lo, s4, v10
	s_delay_alu instid0(VALU_DEP_2) | instskip(NEXT) | instid1(VALU_DEP_1)
	v_add_nc_u32_e32 v11, 1, v3
	v_dual_cndmask_b32 v10, v3, v11 :: v_dual_mov_b32 v11, v2
.LBB14_7:                               ;   in Loop: Header=BB14_3 Depth=1
	s_or_b32 exec_lo, exec_lo, s0
	v_add_nc_u64_e32 v[12:13], 32, v[8:9]
                                        ; implicit-def: $vgpr14_vgpr15
	s_mov_b32 s0, exec_lo
	s_delay_alu instid0(VALU_DEP_1) | instskip(NEXT) | instid1(VALU_DEP_1)
	v_mov_b32_e32 v3, v13
	v_cmpx_ne_u64_e32 0, v[2:3]
	s_xor_b32 s12, exec_lo, s0
	s_cbranch_execz .LBB14_9
; %bb.8:                                ;   in Loop: Header=BB14_3 Depth=1
	v_mul_u64_e32 v[14:15], s[14:15], v[4:5]
	v_dual_mov_b32 v19, v2 :: v_dual_mov_b32 v21, v2
	s_delay_alu instid0(VALU_DEP_2) | instskip(SKIP_1) | instid1(VALU_DEP_4)
	v_mul_hi_u32 v17, v4, v15
	v_mul_lo_u32 v16, v4, v15
	v_mul_hi_u32 v18, v4, v14
	v_mul_lo_u32 v3, v5, v14
	v_mul_hi_u32 v9, v5, v14
	v_mul_hi_u32 v20, v5, v15
	v_mul_lo_u32 v14, v5, v15
	v_add_nc_u64_e32 v[16:17], v[18:19], v[16:17]
	s_delay_alu instid0(VALU_DEP_1) | instskip(NEXT) | instid1(VALU_DEP_2)
	v_add_co_u32 v3, vcc_lo, v16, v3
	v_add_co_ci_u32_e32 v18, vcc_lo, v17, v9, vcc_lo
	v_add_co_ci_u32_e32 v15, vcc_lo, 0, v20, vcc_lo
	s_delay_alu instid0(VALU_DEP_1) | instskip(NEXT) | instid1(VALU_DEP_1)
	v_add_nc_u64_e32 v[14:15], v[18:19], v[14:15]
	v_add_co_u32 v14, vcc_lo, v4, v14
	s_delay_alu instid0(VALU_DEP_1) | instskip(NEXT) | instid1(VALU_DEP_1)
	v_add_co_ci_u32_e64 v15, null, v5, v15, vcc_lo
	v_mul_u64_e32 v[16:17], s[14:15], v[14:15]
	s_delay_alu instid0(VALU_DEP_1) | instskip(SKIP_1) | instid1(VALU_DEP_3)
	v_mul_hi_u32 v19, v14, v17
	v_mul_lo_u32 v18, v14, v17
	v_mul_hi_u32 v20, v14, v16
	v_mul_lo_u32 v3, v15, v16
	v_mul_hi_u32 v9, v15, v16
	v_mul_hi_u32 v26, v15, v17
	v_mul_lo_u32 v16, v15, v17
	v_add_nc_u64_e32 v[18:19], v[20:21], v[18:19]
	s_delay_alu instid0(VALU_DEP_1) | instskip(NEXT) | instid1(VALU_DEP_2)
	v_add_co_u32 v3, vcc_lo, v18, v3
	v_add_co_ci_u32_e32 v20, vcc_lo, v19, v9, vcc_lo
	v_add_co_ci_u32_e32 v17, vcc_lo, 0, v26, vcc_lo
	v_mov_b32_e32 v19, v2
	s_delay_alu instid0(VALU_DEP_2) | instskip(SKIP_1) | instid1(VALU_DEP_2)
	v_add_nc_u64_e32 v[16:17], v[20:21], v[16:17]
	v_mov_b32_e32 v20, v12
	v_add_co_u32 v14, vcc_lo, v14, v16
	s_delay_alu instid0(VALU_DEP_1) | instskip(SKIP_2) | instid1(VALU_DEP_3)
	v_add_co_ci_u32_e64 v18, null, v15, v17, vcc_lo
	v_dual_mov_b32 v16, v13 :: v_dual_mov_b32 v17, v2
	v_mov_b32_e32 v15, v2
	v_mul_u64_e32 v[20:21], v[20:21], v[18:19]
	s_delay_alu instid0(VALU_DEP_2) | instskip(SKIP_2) | instid1(VALU_DEP_1)
	v_mul_u64_e32 v[26:27], v[16:17], v[14:15]
	v_mul_u64_e32 v[16:17], v[16:17], v[18:19]
	v_mul_hi_u32 v14, v12, v14
	v_add_nc_u64_e32 v[14:15], v[14:15], v[20:21]
	s_delay_alu instid0(VALU_DEP_1) | instskip(NEXT) | instid1(VALU_DEP_2)
	v_add_co_u32 v3, vcc_lo, v14, v26
	v_add_co_ci_u32_e32 v18, vcc_lo, v15, v27, vcc_lo
	v_add_co_ci_u32_e32 v17, vcc_lo, 0, v17, vcc_lo
	s_delay_alu instid0(VALU_DEP_1) | instskip(NEXT) | instid1(VALU_DEP_1)
	v_add_nc_u64_e32 v[14:15], v[18:19], v[16:17]
	v_mul_u64_e32 v[16:17], s[4:5], v[14:15]
	s_delay_alu instid0(VALU_DEP_1) | instskip(NEXT) | instid1(VALU_DEP_1)
	v_sub_co_u32 v3, vcc_lo, v12, v16
	v_sub_co_ci_u32_e64 v9, null, v13, v17, vcc_lo
	s_delay_alu instid0(VALU_DEP_2) | instskip(NEXT) | instid1(VALU_DEP_1)
	v_sub_co_u32 v16, vcc_lo, v3, s4
	v_subrev_co_ci_u32_e64 v18, null, 0, v9, vcc_lo
	v_cmp_eq_u32_e64 s0, 0, v9
	s_delay_alu instid0(VALU_DEP_3) | instskip(SKIP_3) | instid1(VALU_DEP_2)
	v_cmp_le_u32_e32 vcc_lo, s4, v16
	v_add_nc_u64_e32 v[16:17], 2, v[14:15]
	v_cndmask_b32_e64 v19, 0, -1, vcc_lo
	v_cmp_eq_u32_e32 vcc_lo, 0, v18
	v_cndmask_b32_e32 v20, -1, v19, vcc_lo
	v_cmp_le_u32_e32 vcc_lo, s4, v3
	v_add_nc_u64_e32 v[18:19], 1, v[14:15]
	v_cndmask_b32_e64 v3, 0, -1, vcc_lo
	s_delay_alu instid0(VALU_DEP_4) | instskip(NEXT) | instid1(VALU_DEP_2)
	v_cmp_ne_u32_e32 vcc_lo, 0, v20
	v_dual_cndmask_b32 v3, -1, v3, s0 :: v_dual_cndmask_b32 v9, v19, v17, vcc_lo
	s_delay_alu instid0(VALU_DEP_4) | instskip(NEXT) | instid1(VALU_DEP_2)
	v_cndmask_b32_e32 v16, v18, v16, vcc_lo
	v_cmp_ne_u32_e32 vcc_lo, 0, v3
	s_delay_alu instid0(VALU_DEP_2)
	v_dual_cndmask_b32 v15, v15, v9 :: v_dual_cndmask_b32 v14, v14, v16
.LBB14_9:                               ;   in Loop: Header=BB14_3 Depth=1
	s_and_not1_saveexec_b32 s0, s12
	s_cbranch_execz .LBB14_11
; %bb.10:                               ;   in Loop: Header=BB14_3 Depth=1
	v_rcp_iflag_f32_e32 v3, v1
	v_nop
	s_delay_alu instid0(TRANS32_DEP_1) | instskip(NEXT) | instid1(VALU_DEP_1)
	v_mul_f32_e32 v3, 0x4f7ffffe, v3
	v_cvt_u32_f32_e32 v3, v3
	s_delay_alu instid0(VALU_DEP_1) | instskip(NEXT) | instid1(VALU_DEP_1)
	v_mul_lo_u32 v9, s24, v3
	v_mul_hi_u32 v9, v3, v9
	s_delay_alu instid0(VALU_DEP_1) | instskip(NEXT) | instid1(VALU_DEP_1)
	v_add_nc_u32_e32 v3, v3, v9
	v_mul_hi_u32 v3, v12, v3
	s_delay_alu instid0(VALU_DEP_1) | instskip(NEXT) | instid1(VALU_DEP_1)
	v_mul_lo_u32 v9, v3, s4
	v_dual_add_nc_u32 v14, 1, v3 :: v_dual_sub_nc_u32 v9, v12, v9
	s_delay_alu instid0(VALU_DEP_1) | instskip(SKIP_1) | instid1(VALU_DEP_2)
	v_subrev_nc_u32_e32 v15, s4, v9
	v_cmp_le_u32_e32 vcc_lo, s4, v9
	v_dual_cndmask_b32 v9, v9, v15, vcc_lo :: v_dual_mov_b32 v15, v2
	s_delay_alu instid0(VALU_DEP_4) | instskip(NEXT) | instid1(VALU_DEP_2)
	v_cndmask_b32_e32 v3, v3, v14, vcc_lo
	v_cmp_le_u32_e32 vcc_lo, s4, v9
	s_delay_alu instid0(VALU_DEP_2) | instskip(NEXT) | instid1(VALU_DEP_1)
	v_add_nc_u32_e32 v14, 1, v3
	v_cndmask_b32_e32 v14, v3, v14, vcc_lo
.LBB14_11:                              ;   in Loop: Header=BB14_3 Depth=1
	s_or_b32 exec_lo, exec_lo, s0
	s_ashr_i32 s17, s16, 31
	s_delay_alu instid0(SALU_CYCLE_1) | instskip(NEXT) | instid1(SALU_CYCLE_1)
	s_lshl_b64 s[18:19], s[16:17], 5
	s_and_b64 s[26:27], s[18:19], 0xffffffff00000000
	s_delay_alu instid0(SALU_CYCLE_1)
	s_cmp_lg_u64 s[26:27], 0
	s_cbranch_scc0 .LBB14_35
; %bb.12:                               ;   in Loop: Header=BB14_3 Depth=1
	v_mul_u64_e32 v[16:17], s[14:15], v[4:5]
	v_dual_mov_b32 v21, v2 :: v_dual_mov_b32 v27, v2
	s_delay_alu instid0(VALU_DEP_2) | instskip(SKIP_1) | instid1(VALU_DEP_4)
	v_mul_hi_u32 v19, v4, v17
	v_mul_lo_u32 v18, v4, v17
	v_mul_hi_u32 v20, v4, v16
	v_mul_lo_u32 v3, v5, v16
	v_mul_hi_u32 v9, v5, v16
	v_mul_hi_u32 v26, v5, v17
	v_mul_lo_u32 v16, v5, v17
	v_add_nc_u64_e32 v[18:19], v[20:21], v[18:19]
	s_delay_alu instid0(VALU_DEP_1) | instskip(NEXT) | instid1(VALU_DEP_2)
	v_add_co_u32 v3, vcc_lo, v18, v3
	v_add_co_ci_u32_e32 v20, vcc_lo, v19, v9, vcc_lo
	v_add_co_ci_u32_e32 v17, vcc_lo, 0, v26, vcc_lo
	s_delay_alu instid0(VALU_DEP_1) | instskip(NEXT) | instid1(VALU_DEP_1)
	v_add_nc_u64_e32 v[16:17], v[20:21], v[16:17]
	v_add_co_u32 v16, vcc_lo, v4, v16
	s_delay_alu instid0(VALU_DEP_1) | instskip(NEXT) | instid1(VALU_DEP_1)
	v_add_co_ci_u32_e64 v17, null, v5, v17, vcc_lo
	v_mul_u64_e32 v[18:19], s[14:15], v[16:17]
	s_delay_alu instid0(VALU_DEP_1) | instskip(SKIP_1) | instid1(VALU_DEP_3)
	v_mul_hi_u32 v21, v16, v19
	v_mul_lo_u32 v20, v16, v19
	v_mul_hi_u32 v26, v16, v18
	v_mul_lo_u32 v3, v17, v18
	v_mul_hi_u32 v9, v17, v18
	v_mul_hi_u32 v28, v17, v19
	v_mul_lo_u32 v18, v17, v19
	v_add_nc_u64_e32 v[20:21], v[26:27], v[20:21]
	s_delay_alu instid0(VALU_DEP_1) | instskip(NEXT) | instid1(VALU_DEP_2)
	v_add_co_u32 v3, vcc_lo, v20, v3
	v_add_co_ci_u32_e32 v26, vcc_lo, v21, v9, vcc_lo
	v_add_co_ci_u32_e32 v19, vcc_lo, 0, v28, vcc_lo
	s_delay_alu instid0(VALU_DEP_1) | instskip(NEXT) | instid1(VALU_DEP_1)
	v_add_nc_u64_e32 v[18:19], v[26:27], v[18:19]
	v_add_co_u32 v3, vcc_lo, v16, v18
	s_delay_alu instid0(VALU_DEP_1) | instskip(SKIP_1) | instid1(VALU_DEP_3)
	v_add_co_ci_u32_e64 v9, null, v17, v19, vcc_lo
	v_mov_b32_e32 v19, v2
	v_mul_hi_u32 v18, s18, v3
	v_mul_lo_u32 v21, s19, v3
	s_delay_alu instid0(VALU_DEP_4) | instskip(SKIP_4) | instid1(VALU_DEP_4)
	v_mul_hi_u32 v17, s18, v9
	v_mul_lo_u32 v16, s18, v9
	v_mul_hi_u32 v3, s19, v3
	v_mul_hi_u32 v26, s19, v9
	v_mul_lo_u32 v20, s19, v9
	v_add_nc_u64_e32 v[16:17], v[18:19], v[16:17]
	s_delay_alu instid0(VALU_DEP_1) | instskip(NEXT) | instid1(VALU_DEP_2)
	v_add_co_u32 v9, vcc_lo, v16, v21
	v_add_co_ci_u32_e32 v18, vcc_lo, v17, v3, vcc_lo
	v_add_co_ci_u32_e32 v21, vcc_lo, 0, v26, vcc_lo
	s_delay_alu instid0(VALU_DEP_1) | instskip(NEXT) | instid1(VALU_DEP_1)
	v_add_nc_u64_e32 v[16:17], v[18:19], v[20:21]
	v_mul_u64_e32 v[18:19], s[4:5], v[16:17]
	s_delay_alu instid0(VALU_DEP_1) | instskip(NEXT) | instid1(VALU_DEP_1)
	v_sub_co_u32 v3, vcc_lo, s18, v18
	v_sub_co_ci_u32_e64 v9, null, s19, v19, vcc_lo
	s_delay_alu instid0(VALU_DEP_2) | instskip(NEXT) | instid1(VALU_DEP_1)
	v_sub_co_u32 v18, vcc_lo, v3, s4
	v_subrev_co_ci_u32_e64 v20, null, 0, v9, vcc_lo
	v_cmp_eq_u32_e64 s0, 0, v9
	s_delay_alu instid0(VALU_DEP_3) | instskip(SKIP_3) | instid1(VALU_DEP_2)
	v_cmp_le_u32_e32 vcc_lo, s4, v18
	v_add_nc_u64_e32 v[18:19], 1, v[16:17]
	v_cndmask_b32_e64 v21, 0, -1, vcc_lo
	v_cmp_eq_u32_e32 vcc_lo, 0, v20
	v_cndmask_b32_e32 v26, -1, v21, vcc_lo
	v_cmp_le_u32_e32 vcc_lo, s4, v3
	v_add_nc_u64_e32 v[20:21], 2, v[16:17]
	v_cndmask_b32_e64 v3, 0, -1, vcc_lo
	s_delay_alu instid0(VALU_DEP_4) | instskip(NEXT) | instid1(VALU_DEP_2)
	v_cmp_ne_u32_e32 vcc_lo, 0, v26
	v_dual_cndmask_b32 v3, -1, v3, s0 :: v_dual_cndmask_b32 v9, v18, v20, vcc_lo
	s_delay_alu instid0(VALU_DEP_4) | instskip(NEXT) | instid1(VALU_DEP_2)
	v_cndmask_b32_e32 v18, v19, v21, vcc_lo
	v_cmp_ne_u32_e32 vcc_lo, 0, v3
	s_delay_alu instid0(VALU_DEP_2)
	v_dual_cndmask_b32 v17, v17, v18 :: v_dual_cndmask_b32 v16, v16, v9
	s_cbranch_execnz .LBB14_14
.LBB14_13:                              ;   in Loop: Header=BB14_3 Depth=1
	v_rcp_iflag_f32_e32 v3, v1
	v_nop
	s_delay_alu instid0(TRANS32_DEP_1) | instskip(NEXT) | instid1(VALU_DEP_1)
	v_mul_f32_e32 v3, 0x4f7ffffe, v3
	v_cvt_u32_f32_e32 v3, v3
	s_delay_alu instid0(VALU_DEP_1) | instskip(SKIP_1) | instid1(SALU_CYCLE_1)
	v_readfirstlane_b32 s0, v3
	s_mul_i32 s12, s24, s0
	s_mul_hi_u32 s12, s0, s12
	s_delay_alu instid0(SALU_CYCLE_1) | instskip(NEXT) | instid1(SALU_CYCLE_1)
	s_add_co_i32 s0, s0, s12
	s_mul_hi_u32 s0, s18, s0
	s_delay_alu instid0(SALU_CYCLE_1) | instskip(SKIP_2) | instid1(SALU_CYCLE_1)
	s_mul_i32 s12, s0, s4
	s_add_co_i32 s17, s0, 1
	s_sub_co_i32 s12, s18, s12
	s_sub_co_i32 s18, s12, s4
	s_cmp_ge_u32 s12, s4
	s_cselect_b32 s0, s17, s0
	s_cselect_b32 s12, s18, s12
	s_add_co_i32 s17, s0, 1
	s_cmp_ge_u32 s12, s4
	s_cselect_b32 s12, s17, s0
	s_delay_alu instid0(SALU_CYCLE_1)
	v_mov_b64_e32 v[16:17], s[12:13]
.LBB14_14:                              ;   in Loop: Header=BB14_3 Depth=1
	s_addk_co_i32 s16, 0x100
	s_delay_alu instid0(SALU_CYCLE_1) | instskip(NEXT) | instid1(SALU_CYCLE_1)
	s_ashr_i32 s17, s16, 31
	s_lshl_b64 s[16:17], s[16:17], 5
	s_delay_alu instid0(SALU_CYCLE_1) | instskip(NEXT) | instid1(SALU_CYCLE_1)
	s_and_b64 s[18:19], s[16:17], 0xffffffff00000000
	s_cmp_lg_u64 s[18:19], 0
	s_cbranch_scc0 .LBB14_36
; %bb.15:                               ;   in Loop: Header=BB14_3 Depth=1
	v_mul_u64_e32 v[18:19], s[14:15], v[4:5]
	v_dual_mov_b32 v27, v2 :: v_dual_mov_b32 v29, v2
	s_delay_alu instid0(VALU_DEP_2) | instskip(SKIP_1) | instid1(VALU_DEP_4)
	v_mul_hi_u32 v21, v4, v19
	v_mul_lo_u32 v20, v4, v19
	v_mul_hi_u32 v26, v4, v18
	v_mul_lo_u32 v3, v5, v18
	v_mul_hi_u32 v9, v5, v18
	v_mul_hi_u32 v28, v5, v19
	v_mul_lo_u32 v18, v5, v19
	v_add_nc_u64_e32 v[20:21], v[26:27], v[20:21]
	s_delay_alu instid0(VALU_DEP_1) | instskip(NEXT) | instid1(VALU_DEP_2)
	v_add_co_u32 v3, vcc_lo, v20, v3
	v_add_co_ci_u32_e32 v26, vcc_lo, v21, v9, vcc_lo
	v_add_co_ci_u32_e32 v19, vcc_lo, 0, v28, vcc_lo
	s_delay_alu instid0(VALU_DEP_1) | instskip(NEXT) | instid1(VALU_DEP_1)
	v_add_nc_u64_e32 v[18:19], v[26:27], v[18:19]
	v_add_co_u32 v18, vcc_lo, v4, v18
	s_delay_alu instid0(VALU_DEP_1) | instskip(NEXT) | instid1(VALU_DEP_1)
	v_add_co_ci_u32_e64 v19, null, v5, v19, vcc_lo
	v_mul_u64_e32 v[20:21], s[14:15], v[18:19]
	s_delay_alu instid0(VALU_DEP_1) | instskip(SKIP_1) | instid1(VALU_DEP_3)
	v_mul_hi_u32 v27, v18, v21
	v_mul_lo_u32 v26, v18, v21
	v_mul_hi_u32 v28, v18, v20
	v_mul_lo_u32 v3, v19, v20
	v_mul_hi_u32 v9, v19, v20
	v_mul_hi_u32 v30, v19, v21
	v_mul_lo_u32 v20, v19, v21
	v_add_nc_u64_e32 v[26:27], v[28:29], v[26:27]
	s_delay_alu instid0(VALU_DEP_1) | instskip(NEXT) | instid1(VALU_DEP_2)
	v_add_co_u32 v3, vcc_lo, v26, v3
	v_add_co_ci_u32_e32 v28, vcc_lo, v27, v9, vcc_lo
	v_add_co_ci_u32_e32 v21, vcc_lo, 0, v30, vcc_lo
	s_delay_alu instid0(VALU_DEP_1) | instskip(NEXT) | instid1(VALU_DEP_1)
	v_add_nc_u64_e32 v[20:21], v[28:29], v[20:21]
	v_add_co_u32 v3, vcc_lo, v18, v20
	s_delay_alu instid0(VALU_DEP_1) | instskip(SKIP_1) | instid1(VALU_DEP_3)
	v_add_co_ci_u32_e64 v9, null, v19, v21, vcc_lo
	v_mov_b32_e32 v21, v2
	v_mul_hi_u32 v20, s16, v3
	v_mul_lo_u32 v27, s17, v3
	s_delay_alu instid0(VALU_DEP_4) | instskip(SKIP_4) | instid1(VALU_DEP_4)
	v_mul_hi_u32 v19, s16, v9
	v_mul_lo_u32 v18, s16, v9
	v_mul_hi_u32 v3, s17, v3
	v_mul_hi_u32 v28, s17, v9
	v_mul_lo_u32 v26, s17, v9
	v_add_nc_u64_e32 v[18:19], v[20:21], v[18:19]
	s_delay_alu instid0(VALU_DEP_1) | instskip(NEXT) | instid1(VALU_DEP_2)
	v_add_co_u32 v9, vcc_lo, v18, v27
	v_add_co_ci_u32_e32 v20, vcc_lo, v19, v3, vcc_lo
	v_add_co_ci_u32_e32 v27, vcc_lo, 0, v28, vcc_lo
	s_delay_alu instid0(VALU_DEP_1) | instskip(NEXT) | instid1(VALU_DEP_1)
	v_add_nc_u64_e32 v[18:19], v[20:21], v[26:27]
	v_mul_u64_e32 v[20:21], s[4:5], v[18:19]
	s_delay_alu instid0(VALU_DEP_1) | instskip(NEXT) | instid1(VALU_DEP_1)
	v_sub_co_u32 v3, vcc_lo, s16, v20
	v_sub_co_ci_u32_e64 v9, null, s17, v21, vcc_lo
	s_delay_alu instid0(VALU_DEP_2) | instskip(NEXT) | instid1(VALU_DEP_1)
	v_sub_co_u32 v20, vcc_lo, v3, s4
	v_subrev_co_ci_u32_e64 v26, null, 0, v9, vcc_lo
	v_cmp_eq_u32_e64 s0, 0, v9
	s_delay_alu instid0(VALU_DEP_3) | instskip(SKIP_3) | instid1(VALU_DEP_2)
	v_cmp_le_u32_e32 vcc_lo, s4, v20
	v_add_nc_u64_e32 v[20:21], 1, v[18:19]
	v_cndmask_b32_e64 v27, 0, -1, vcc_lo
	v_cmp_eq_u32_e32 vcc_lo, 0, v26
	v_cndmask_b32_e32 v28, -1, v27, vcc_lo
	v_cmp_le_u32_e32 vcc_lo, s4, v3
	v_add_nc_u64_e32 v[26:27], 2, v[18:19]
	v_cndmask_b32_e64 v3, 0, -1, vcc_lo
	s_delay_alu instid0(VALU_DEP_4) | instskip(NEXT) | instid1(VALU_DEP_2)
	v_cmp_ne_u32_e32 vcc_lo, 0, v28
	v_dual_cndmask_b32 v3, -1, v3, s0 :: v_dual_cndmask_b32 v9, v20, v26, vcc_lo
	s_delay_alu instid0(VALU_DEP_4) | instskip(NEXT) | instid1(VALU_DEP_2)
	v_cndmask_b32_e32 v20, v21, v27, vcc_lo
	v_cmp_ne_u32_e32 vcc_lo, 0, v3
	s_delay_alu instid0(VALU_DEP_2)
	v_dual_cndmask_b32 v18, v18, v9 :: v_dual_cndmask_b32 v19, v19, v20
	s_cbranch_execnz .LBB14_17
.LBB14_16:                              ;   in Loop: Header=BB14_3 Depth=1
	v_rcp_iflag_f32_e32 v1, v1
	v_nop
	s_delay_alu instid0(TRANS32_DEP_1) | instskip(NEXT) | instid1(VALU_DEP_1)
	v_mul_f32_e32 v1, 0x4f7ffffe, v1
	v_cvt_u32_f32_e32 v1, v1
	s_delay_alu instid0(VALU_DEP_1) | instskip(SKIP_1) | instid1(SALU_CYCLE_1)
	v_readfirstlane_b32 s0, v1
	s_mul_i32 s12, s24, s0
	s_mul_hi_u32 s12, s0, s12
	s_delay_alu instid0(SALU_CYCLE_1) | instskip(NEXT) | instid1(SALU_CYCLE_1)
	s_add_co_i32 s0, s0, s12
	s_mul_hi_u32 s0, s16, s0
	s_delay_alu instid0(SALU_CYCLE_1) | instskip(SKIP_2) | instid1(SALU_CYCLE_1)
	s_mul_i32 s12, s0, s4
	s_add_co_i32 s18, s0, 1
	s_sub_co_i32 s12, s16, s12
	s_sub_co_i32 s19, s12, s4
	s_cmp_ge_u32 s12, s4
	s_cselect_b32 s0, s18, s0
	s_cselect_b32 s12, s19, s12
	s_add_co_i32 s18, s0, 1
	s_cmp_ge_u32 s12, s4
	s_cselect_b32 s12, s18, s0
	s_delay_alu instid0(SALU_CYCLE_1)
	v_mov_b64_e32 v[18:19], s[12:13]
.LBB14_17:                              ;   in Loop: Header=BB14_3 Depth=1
	s_delay_alu instid0(VALU_DEP_1)
	v_mul_u64_e32 v[20:21], s[4:5], v[18:19]
	v_mov_b32_e32 v27, s13
	v_and_b32_e32 v16, 0xffffff00, v16
	v_min_u64 v[10:11], s[6:7], v[10:11]
	v_mov_b32_e32 v3, 0
	v_sub_nc_u64_e32 v[20:21], s[16:17], v[20:21]
	s_delay_alu instid0(VALU_DEP_1) | instskip(SKIP_2) | instid1(VALU_DEP_1)
	v_cmp_ne_u64_e32 vcc_lo, 0, v[20:21]
	v_mov_b32_e32 v21, v2
	v_cndmask_b32_e64 v26, 0, 1, vcc_lo
	v_add_nc_u64_e32 v[18:19], v[18:19], v[26:27]
	s_delay_alu instid0(VALU_DEP_1) | instskip(NEXT) | instid1(VALU_DEP_1)
	v_and_b32_e32 v20, 0xff, v18
	v_cmp_eq_u64_e32 vcc_lo, 0, v[20:21]
	v_cndmask_b32_e64 v20, 0x100, 0, vcc_lo
	s_delay_alu instid0(VALU_DEP_1) | instskip(SKIP_1) | instid1(VALU_DEP_2)
	v_add_nc_u64_e32 v[20:21], v[20:21], v[18:19]
	v_min_u64 v[18:19], s[6:7], v[16:17]
	v_and_b32_e32 v20, 0xffffff00, v20
	s_delay_alu instid0(VALU_DEP_1) | instskip(NEXT) | instid1(VALU_DEP_1)
	v_min_u64 v[16:17], s[6:7], v[20:21]
	v_cmp_ge_i32_e32 vcc_lo, v18, v16
	s_cbranch_vccnz .LBB14_33
; %bb.18:                               ;   in Loop: Header=BB14_3 Depth=1
	v_mul_u64_e32 v[20:21], s[4:5], v[14:15]
	v_dual_mov_b32 v3, 0 :: v_dual_mov_b32 v1, v8
	s_delay_alu instid0(VALU_DEP_2) | instskip(NEXT) | instid1(VALU_DEP_1)
	v_sub_nc_u64_e32 v[12:13], v[12:13], v[20:21]
	v_cmp_ne_u64_e32 vcc_lo, 0, v[12:13]
	v_mov_b32_e32 v13, s13
	v_cndmask_b32_e64 v12, 0, 1, vcc_lo
	s_delay_alu instid0(VALU_DEP_1) | instskip(NEXT) | instid1(VALU_DEP_1)
	v_add_nc_u64_e32 v[12:13], v[14:15], v[12:13]
	v_min_u64 v[12:13], s[6:7], v[12:13]
.LBB14_19:                              ;   Parent Loop BB14_3 Depth=1
                                        ; =>  This Loop Header: Depth=2
                                        ;       Child Loop BB14_24 Depth 3
                                        ;       Child Loop BB14_28 Depth 3
	s_delay_alu instid0(VALU_DEP_1) | instskip(SKIP_3) | instid1(VALU_DEP_1)
	v_add_nc_u32_e32 v14, v18, v0
	s_mov_b32 s0, exec_lo
	s_barrier_signal -1
	s_barrier_wait -1
	v_ashrrev_i32_e32 v15, 31, v14
	s_delay_alu instid0(VALU_DEP_1)
	v_cmpx_gt_u64_e64 s[2:3], v[14:15]
	s_cbranch_execz .LBB14_21
; %bb.20:                               ;   in Loop: Header=BB14_19 Depth=2
	v_lshl_add_u64 v[14:15], v[14:15], 2, s[10:11]
	global_load_b32 v9, v[14:15], off
	s_wait_loadcnt 0x0
	s_wait_kmcnt 0x0
	v_subrev_nc_u32_e32 v9, s22, v9
	ds_store_b32 v23, v9
.LBB14_21:                              ;   in Loop: Header=BB14_19 Depth=2
	s_wait_xcnt 0x0
	s_or_b32 exec_lo, exec_lo, s0
	v_add_nc_u32_e32 v9, 0x100, v18
	v_max_i32_e32 v14, v10, v18
	s_wait_dscnt 0x0
	s_barrier_signal -1
	s_barrier_wait -1
	v_min_i32_e32 v11, v12, v9
	s_mov_b32 s0, exec_lo
	s_delay_alu instid0(VALU_DEP_1)
	v_cmpx_gt_i32_e64 v11, v14
	s_xor_b32 s12, exec_lo, s0
	s_cbranch_execz .LBB14_31
; %bb.22:                               ;   in Loop: Header=BB14_19 Depth=2
	v_sub_nc_u32_e32 v13, v11, v14
	s_mov_b32 s17, -1
	s_mov_b32 s16, exec_lo
	s_delay_alu instid0(VALU_DEP_1)
	v_cmpx_lt_u32_e32 1, v13
	s_cbranch_execz .LBB14_26
; %bb.23:                               ;   in Loop: Header=BB14_19 Depth=2
	v_dual_add_nc_u32 v15, 1, v14 :: v_dual_bitop2_b32 v17, -2, v13 bitop3:0x40
	v_mov_b32_e32 v19, 0
	s_mov_b32 s17, 0
	s_mov_b32 s18, 0
	s_delay_alu instid0(VALU_DEP_2)
	v_mov_b32_e32 v26, v17
	v_mov_b64_e32 v[20:21], v[14:15]
.LBB14_24:                              ;   Parent Loop BB14_3 Depth=1
                                        ;     Parent Loop BB14_19 Depth=2
                                        ; =>    This Inner Loop Header: Depth=3
	s_delay_alu instid0(VALU_DEP_1) | instskip(SKIP_1) | instid1(VALU_DEP_3)
	v_mul_lo_u32 v27, v20, v25
	v_add_nc_u32_e32 v15, s18, v14
	v_mul_lo_u32 v30, v21, v25
	v_dual_add_nc_u32 v21, 2, v21 :: v_dual_add_nc_u32 v20, 2, v20
	s_add_co_i32 s18, s18, 2
	s_delay_alu instid0(VALU_DEP_4) | instskip(NEXT) | instid1(VALU_DEP_1)
	v_dual_add_nc_u32 v26, -2, v26 :: v_dual_sub_nc_u32 v27, v27, v8
	v_dual_sub_nc_u32 v15, v15, v18 :: v_dual_sub_nc_u32 v31, 0, v27
	s_delay_alu instid0(VALU_DEP_1) | instskip(SKIP_4) | instid1(VALU_DEP_1)
	v_lshlrev_b32_e32 v15, 2, v15
	v_cmp_lt_i32_e32 vcc_lo, 0, v27
	ds_load_2addr_b32 v[28:29], v15 offset1:1
	s_wait_dscnt 0x0
	v_dual_sub_nc_u32 v15, v30, v1 :: v_dual_lshlrev_b32 v32, v27, v28
	v_dual_lshrrev_b32 v28, v31, v28 :: v_dual_sub_nc_u32 v30, 0, v15
	v_lshlrev_b32_e32 v33, v15, v29
	v_cmp_lt_i32_e64 s0, 0, v15
	s_delay_alu instid0(VALU_DEP_3) | instskip(SKIP_1) | instid1(VALU_DEP_2)
	v_dual_cndmask_b32 v27, v28, v32, vcc_lo :: v_dual_lshrrev_b32 v29, v30, v29
	v_cmp_eq_u32_e32 vcc_lo, 0, v26
	v_dual_cndmask_b32 v15, v29, v33, s0 :: v_dual_bitop2_b32 v3, v27, v3 bitop3:0x54
	s_or_b32 s17, vcc_lo, s17
	s_delay_alu instid0(VALU_DEP_1)
	v_or_b32_e32 v19, v15, v19
	s_and_not1_b32 exec_lo, exec_lo, s17
	s_cbranch_execnz .LBB14_24
; %bb.25:                               ;   in Loop: Header=BB14_19 Depth=2
	s_or_b32 exec_lo, exec_lo, s17
	v_cmp_ne_u32_e32 vcc_lo, v13, v17
	v_dual_add_nc_u32 v14, v14, v17 :: v_dual_bitop2_b32 v3, v3, v19 bitop3:0x54
	s_or_not1_b32 s17, vcc_lo, exec_lo
.LBB14_26:                              ;   in Loop: Header=BB14_19 Depth=2
	s_or_b32 exec_lo, exec_lo, s16
	s_and_saveexec_b32 s0, s17
	s_cbranch_execz .LBB14_30
; %bb.27:                               ;   in Loop: Header=BB14_19 Depth=2
	v_mul_lo_u32 v15, v25, v14
	s_mov_b32 s16, 0
	s_delay_alu instid0(VALU_DEP_1)
	v_dual_add_nc_u32 v13, v24, v15 :: v_dual_sub_nc_u32 v15, v22, v15
.LBB14_28:                              ;   Parent Loop BB14_3 Depth=1
                                        ;     Parent Loop BB14_19 Depth=2
                                        ; =>    This Inner Loop Header: Depth=3
	v_sub_nc_u32_e32 v17, v14, v18
	s_delay_alu instid0(VALU_DEP_2) | instskip(NEXT) | instid1(VALU_DEP_2)
	v_cmp_lt_i32_e32 vcc_lo, 0, v13
	v_dual_add_nc_u32 v14, 1, v14 :: v_dual_lshlrev_b32 v17, 2, v17
	ds_load_b32 v17, v17
	s_wait_dscnt 0x0
	v_dual_lshlrev_b32 v19, v13, v17 :: v_dual_lshrrev_b32 v17, v15, v17
	v_dual_add_nc_u32 v13, v13, v25 :: v_dual_sub_nc_u32 v15, v15, v25
	s_delay_alu instid0(VALU_DEP_2) | instskip(SKIP_1) | instid1(VALU_DEP_2)
	v_cndmask_b32_e32 v17, v17, v19, vcc_lo
	v_cmp_ge_i32_e32 vcc_lo, v14, v11
	v_or_b32_e32 v3, v17, v3
	s_or_b32 s16, vcc_lo, s16
	s_delay_alu instid0(SALU_CYCLE_1)
	s_and_not1_b32 exec_lo, exec_lo, s16
	s_cbranch_execnz .LBB14_28
; %bb.29:                               ;   in Loop: Header=BB14_19 Depth=2
	s_or_b32 exec_lo, exec_lo, s16
.LBB14_30:                              ;   in Loop: Header=BB14_19 Depth=2
	s_delay_alu instid0(SALU_CYCLE_1)
	s_or_b32 exec_lo, exec_lo, s0
.LBB14_31:                              ;   in Loop: Header=BB14_19 Depth=2
	s_delay_alu instid0(SALU_CYCLE_1)
	s_or_b32 exec_lo, exec_lo, s12
	v_cmp_lt_i32_e32 vcc_lo, v9, v16
	s_cbranch_vccz .LBB14_33
; %bb.32:                               ;   in Loop: Header=BB14_19 Depth=2
	v_mov_b32_e32 v18, v9
	s_branch .LBB14_19
.LBB14_33:                              ;   in Loop: Header=BB14_3 Depth=1
	v_ashrrev_i32_e32 v11, 31, v10
	s_mov_b32 s0, exec_lo
	s_delay_alu instid0(VALU_DEP_1)
	v_cmpx_gt_u64_e64 s[2:3], v[10:11]
	s_cbranch_execz .LBB14_2
; %bb.34:                               ;   in Loop: Header=BB14_3 Depth=1
	v_lshl_add_u64 v[6:7], v[6:7], 2, s[8:9]
	global_store_b32 v[6:7], v3, off
	s_branch .LBB14_2
.LBB14_35:                              ;   in Loop: Header=BB14_3 Depth=1
                                        ; implicit-def: $vgpr16_vgpr17
	s_branch .LBB14_13
.LBB14_36:                              ;   in Loop: Header=BB14_3 Depth=1
                                        ; implicit-def: $vgpr18_vgpr19
	s_branch .LBB14_16
.LBB14_37:
	s_endpgm
	.section	.rodata,"a",@progbits
	.p2align	6, 0x0
	.amdhsa_kernel _Z13bitPackKernelIijEvPKhPKT_PT0_S4_PKm
		.amdhsa_group_segment_fixed_size 1024
		.amdhsa_private_segment_fixed_size 0
		.amdhsa_kernarg_size 296
		.amdhsa_user_sgpr_count 2
		.amdhsa_user_sgpr_dispatch_ptr 0
		.amdhsa_user_sgpr_queue_ptr 0
		.amdhsa_user_sgpr_kernarg_segment_ptr 1
		.amdhsa_user_sgpr_dispatch_id 0
		.amdhsa_user_sgpr_kernarg_preload_length 0
		.amdhsa_user_sgpr_kernarg_preload_offset 0
		.amdhsa_user_sgpr_private_segment_size 0
		.amdhsa_wavefront_size32 1
		.amdhsa_uses_dynamic_stack 0
		.amdhsa_enable_private_segment 0
		.amdhsa_system_sgpr_workgroup_id_x 1
		.amdhsa_system_sgpr_workgroup_id_y 0
		.amdhsa_system_sgpr_workgroup_id_z 0
		.amdhsa_system_sgpr_workgroup_info 0
		.amdhsa_system_vgpr_workitem_id 0
		.amdhsa_next_free_vgpr 34
		.amdhsa_next_free_sgpr 28
		.amdhsa_named_barrier_count 0
		.amdhsa_reserve_vcc 1
		.amdhsa_float_round_mode_32 0
		.amdhsa_float_round_mode_16_64 0
		.amdhsa_float_denorm_mode_32 3
		.amdhsa_float_denorm_mode_16_64 3
		.amdhsa_fp16_overflow 0
		.amdhsa_memory_ordered 1
		.amdhsa_forward_progress 1
		.amdhsa_inst_pref_size 29
		.amdhsa_round_robin_scheduling 0
		.amdhsa_exception_fp_ieee_invalid_op 0
		.amdhsa_exception_fp_denorm_src 0
		.amdhsa_exception_fp_ieee_div_zero 0
		.amdhsa_exception_fp_ieee_overflow 0
		.amdhsa_exception_fp_ieee_underflow 0
		.amdhsa_exception_fp_ieee_inexact 0
		.amdhsa_exception_int_div_zero 0
	.end_amdhsa_kernel
	.section	.text._Z13bitPackKernelIijEvPKhPKT_PT0_S4_PKm,"axG",@progbits,_Z13bitPackKernelIijEvPKhPKT_PT0_S4_PKm,comdat
.Lfunc_end14:
	.size	_Z13bitPackKernelIijEvPKhPKT_PT0_S4_PKm, .Lfunc_end14-_Z13bitPackKernelIijEvPKhPKT_PT0_S4_PKm
                                        ; -- End function
	.set _Z13bitPackKernelIijEvPKhPKT_PT0_S4_PKm.num_vgpr, 34
	.set _Z13bitPackKernelIijEvPKhPKT_PT0_S4_PKm.num_agpr, 0
	.set _Z13bitPackKernelIijEvPKhPKT_PT0_S4_PKm.numbered_sgpr, 28
	.set _Z13bitPackKernelIijEvPKhPKT_PT0_S4_PKm.num_named_barrier, 0
	.set _Z13bitPackKernelIijEvPKhPKT_PT0_S4_PKm.private_seg_size, 0
	.set _Z13bitPackKernelIijEvPKhPKT_PT0_S4_PKm.uses_vcc, 1
	.set _Z13bitPackKernelIijEvPKhPKT_PT0_S4_PKm.uses_flat_scratch, 0
	.set _Z13bitPackKernelIijEvPKhPKT_PT0_S4_PKm.has_dyn_sized_stack, 0
	.set _Z13bitPackKernelIijEvPKhPKT_PT0_S4_PKm.has_recursion, 0
	.set _Z13bitPackKernelIijEvPKhPKT_PT0_S4_PKm.has_indirect_call, 0
	.section	.AMDGPU.csdata,"",@progbits
; Kernel info:
; codeLenInByte = 3700
; TotalNumSgprs: 30
; NumVgprs: 34
; ScratchSize: 0
; MemoryBound: 0
; FloatMode: 240
; IeeeMode: 1
; LDSByteSize: 1024 bytes/workgroup (compile time only)
; SGPRBlocks: 0
; VGPRBlocks: 2
; NumSGPRsForWavesPerEU: 30
; NumVGPRsForWavesPerEU: 34
; NamedBarCnt: 0
; Occupancy: 16
; WaveLimiterHint : 0
; COMPUTE_PGM_RSRC2:SCRATCH_EN: 0
; COMPUTE_PGM_RSRC2:USER_SGPR: 2
; COMPUTE_PGM_RSRC2:TRAP_HANDLER: 0
; COMPUTE_PGM_RSRC2:TGID_X_EN: 1
; COMPUTE_PGM_RSRC2:TGID_Y_EN: 0
; COMPUTE_PGM_RSRC2:TGID_Z_EN: 0
; COMPUTE_PGM_RSRC2:TIDIG_COMP_CNT: 0
	.section	.text._Z23bitPackConfigScanKernelIjjEvPT_S1_PKT0_PKm,"axG",@progbits,_Z23bitPackConfigScanKernelIjjEvPT_S1_PKT0_PKm,comdat
	.protected	_Z23bitPackConfigScanKernelIjjEvPT_S1_PKT0_PKm ; -- Begin function _Z23bitPackConfigScanKernelIjjEvPT_S1_PKT0_PKm
	.globl	_Z23bitPackConfigScanKernelIjjEvPT_S1_PKT0_PKm
	.p2align	8
	.type	_Z23bitPackConfigScanKernelIjjEvPT_S1_PKT0_PKm,@function
_Z23bitPackConfigScanKernelIjjEvPT_S1_PKT0_PKm: ; @_Z23bitPackConfigScanKernelIjjEvPT_S1_PKT0_PKm
; %bb.0:
	s_load_b256 s[4:11], s[0:1], 0x0
	s_wait_kmcnt 0x0
	s_load_b64 s[2:3], s[10:11], 0x0
	s_wait_kmcnt 0x0
	s_and_b64 s[10:11], s[2:3], 0xff
	s_lshr_b64 s[12:13], s[2:3], 8
	s_cmp_lg_u64 s[10:11], 0
	s_cselect_b32 s3, -1, 0
	s_delay_alu instid0(SALU_CYCLE_1)
	s_cmp_lg_u32 s3, 0
	s_add_co_ci_u32 s10, s12, 0
	s_bfe_u32 s3, ttmp6, 0x4000c
	s_and_b32 s11, ttmp6, 15
	s_add_co_i32 s3, s3, 1
	s_getreg_b32 s12, hwreg(HW_REG_IB_STS2, 6, 4)
	s_mul_i32 s3, ttmp9, s3
	s_delay_alu instid0(SALU_CYCLE_1) | instskip(SKIP_2) | instid1(SALU_CYCLE_1)
	s_add_co_i32 s11, s11, s3
	s_cmp_eq_u32 s12, 0
	s_cselect_b32 s3, ttmp9, s11
	s_cmp_ge_u32 s3, s10
	s_cbranch_scc1 .LBB15_82
; %bb.1:
	s_cmp_lt_i32 s3, s10
	s_cbranch_scc1 .LBB15_83
; %bb.2:
	s_cbranch_execz .LBB15_84
; %bb.3:
	v_dual_mov_b32 v1, 0 :: v_dual_mov_b32 v2, 0
	s_mov_b32 s1, 0
.LBB15_4:
	v_lshlrev_b32_e32 v3, 2, v0
	v_cmp_lt_u32_e32 vcc_lo, 0x7f, v0
	ds_store_2addr_stride64_b32 v3, v2, v1 offset1:4
	v_add_nc_u32_e32 v1, 0xfffffe00, v3
	s_wait_dscnt 0x0
	s_barrier_signal -1
	s_barrier_wait -1
	s_and_saveexec_b32 s0, vcc_lo
	s_delay_alu instid0(SALU_CYCLE_1)
	s_xor_b32 s2, exec_lo, s0
	s_cbranch_execz .LBB15_8
; %bb.5:
	s_mov_b32 s8, exec_lo
	v_cmpx_gt_i32_e64 s1, v0
	s_cbranch_execz .LBB15_7
; %bb.6:
	ds_load_b32 v2, v1
	ds_load_b32 v4, v3
	s_wait_dscnt 0x0
	v_max_u32_e32 v2, v2, v4
	ds_store_b32 v1, v2
.LBB15_7:
	s_or_b32 exec_lo, exec_lo, s8
.LBB15_8:
	s_or_saveexec_b32 s2, s2
	v_add_nc_u32_e32 v2, 0x400, v3
	s_xor_b32 exec_lo, exec_lo, s2
	s_cbranch_execz .LBB15_12
; %bb.9:
	v_or_b32_e32 v4, 0x80, v0
	s_mov_b32 s8, exec_lo
	s_delay_alu instid0(VALU_DEP_1)
	v_cmpx_gt_i32_e64 s1, v4
	s_cbranch_execz .LBB15_11
; %bb.10:
	ds_load_2addr_stride64_b32 v[4:5], v2 offset1:2
	s_wait_dscnt 0x0
	v_min_u32_e32 v4, v4, v5
	ds_store_b32 v2, v4
.LBB15_11:
	s_or_b32 exec_lo, exec_lo, s8
.LBB15_12:
	s_delay_alu instid0(SALU_CYCLE_1) | instskip(SKIP_4) | instid1(SALU_CYCLE_1)
	s_or_b32 exec_lo, exec_lo, s2
	s_wait_dscnt 0x0
	s_barrier_signal -1
	s_barrier_wait -1
	s_and_saveexec_b32 s0, vcc_lo
	s_xor_b32 s2, exec_lo, s0
	s_cbranch_execz .LBB15_17
; %bb.13:
	s_mov_b32 s8, exec_lo
	v_cmpx_gt_u32_e32 0xc0, v0
	s_cbranch_execz .LBB15_16
; %bb.14:
	v_subrev_nc_u32_e32 v4, 64, v0
	s_delay_alu instid0(VALU_DEP_1)
	v_cmp_gt_i32_e64 s0, s1, v4
	s_and_b32 exec_lo, exec_lo, s0
	s_cbranch_execz .LBB15_16
; %bb.15:
	v_add_nc_u32_e32 v4, 0xffffff00, v3
	ds_load_b32 v5, v1
	ds_load_b32 v4, v4
	s_wait_dscnt 0x0
	v_max_u32_e32 v4, v5, v4
	ds_store_b32 v1, v4
.LBB15_16:
	s_or_b32 exec_lo, exec_lo, s8
.LBB15_17:
	s_and_not1_saveexec_b32 s2, s2
	s_cbranch_execz .LBB15_22
; %bb.18:
	s_mov_b32 s8, exec_lo
	v_cmpx_gt_u32_e32 64, v0
	s_cbranch_execz .LBB15_21
; %bb.19:
	v_or_b32_e32 v4, 64, v0
	s_delay_alu instid0(VALU_DEP_1)
	v_cmp_gt_i32_e64 s0, s1, v4
	s_and_b32 exec_lo, exec_lo, s0
	s_cbranch_execz .LBB15_21
; %bb.20:
	ds_load_2addr_stride64_b32 v[4:5], v2 offset1:1
	s_wait_dscnt 0x0
	v_min_u32_e32 v4, v4, v5
	ds_store_b32 v2, v4
.LBB15_21:
	s_or_b32 exec_lo, exec_lo, s8
.LBB15_22:
	s_delay_alu instid0(SALU_CYCLE_1) | instskip(SKIP_4) | instid1(SALU_CYCLE_1)
	s_or_b32 exec_lo, exec_lo, s2
	s_wait_dscnt 0x0
	s_barrier_signal -1
	s_barrier_wait -1
	s_and_saveexec_b32 s0, vcc_lo
	s_xor_b32 s2, exec_lo, s0
	s_cbranch_execz .LBB15_27
; %bb.23:
	s_mov_b32 s8, exec_lo
	v_cmpx_gt_u32_e32 0xa0, v0
	s_cbranch_execz .LBB15_26
; %bb.24:
	v_add_nc_u32_e32 v4, 0xffffffa0, v0
	s_delay_alu instid0(VALU_DEP_1)
	v_cmp_gt_i32_e64 s0, s1, v4
	s_and_b32 exec_lo, exec_lo, s0
	s_cbranch_execz .LBB15_26
; %bb.25:
	v_add_nc_u32_e32 v4, 0xfffffe80, v3
	ds_load_b32 v5, v1
	ds_load_b32 v4, v4
	s_wait_dscnt 0x0
	v_max_u32_e32 v4, v5, v4
	ds_store_b32 v1, v4
.LBB15_26:
	s_or_b32 exec_lo, exec_lo, s8
.LBB15_27:
	s_and_not1_saveexec_b32 s2, s2
	s_cbranch_execz .LBB15_32
; %bb.28:
	s_mov_b32 s8, exec_lo
	v_cmpx_gt_u32_e32 32, v0
	s_cbranch_execz .LBB15_31
; %bb.29:
	v_or_b32_e32 v4, 32, v0
	s_delay_alu instid0(VALU_DEP_1)
	v_cmp_gt_i32_e64 s0, s1, v4
	s_and_b32 exec_lo, exec_lo, s0
	s_cbranch_execz .LBB15_31
; %bb.30:
	ds_load_2addr_b32 v[4:5], v2 offset1:32
	s_wait_dscnt 0x0
	v_min_u32_e32 v4, v4, v5
	ds_store_b32 v2, v4
.LBB15_31:
	s_or_b32 exec_lo, exec_lo, s8
.LBB15_32:
	s_delay_alu instid0(SALU_CYCLE_1) | instskip(SKIP_4) | instid1(SALU_CYCLE_1)
	s_or_b32 exec_lo, exec_lo, s2
	s_wait_dscnt 0x0
	s_barrier_signal -1
	s_barrier_wait -1
	s_and_saveexec_b32 s0, vcc_lo
	s_xor_b32 s2, exec_lo, s0
	s_cbranch_execz .LBB15_37
; %bb.33:
	s_mov_b32 s8, exec_lo
	v_cmpx_gt_u32_e32 0x90, v0
	s_cbranch_execz .LBB15_36
; %bb.34:
	v_add_nc_u32_e32 v4, 0xffffff90, v0
	s_delay_alu instid0(VALU_DEP_1)
	v_cmp_gt_i32_e64 s0, s1, v4
	s_and_b32 exec_lo, exec_lo, s0
	s_cbranch_execz .LBB15_36
; %bb.35:
	v_add_nc_u32_e32 v4, 0xfffffe40, v3
	ds_load_b32 v5, v1
	ds_load_b32 v4, v4
	s_wait_dscnt 0x0
	v_max_u32_e32 v4, v5, v4
	ds_store_b32 v1, v4
.LBB15_36:
	s_or_b32 exec_lo, exec_lo, s8
.LBB15_37:
	s_and_not1_saveexec_b32 s2, s2
	s_cbranch_execz .LBB15_42
; %bb.38:
	s_mov_b32 s8, exec_lo
	v_cmpx_gt_u32_e32 16, v0
	s_cbranch_execz .LBB15_41
; %bb.39:
	v_or_b32_e32 v4, 16, v0
	s_delay_alu instid0(VALU_DEP_1)
	v_cmp_gt_i32_e64 s0, s1, v4
	s_and_b32 exec_lo, exec_lo, s0
	s_cbranch_execz .LBB15_41
; %bb.40:
	ds_load_2addr_b32 v[4:5], v2 offset1:16
	s_wait_dscnt 0x0
	v_min_u32_e32 v4, v4, v5
	ds_store_b32 v2, v4
.LBB15_41:
	s_or_b32 exec_lo, exec_lo, s8
.LBB15_42:
	;; [unrolled: 48-line block ×5, first 2 shown]
	s_delay_alu instid0(SALU_CYCLE_1)
	s_or_b32 exec_lo, exec_lo, s2
	s_cmp_gt_i32 s1, 1
	s_wait_dscnt 0x0
	s_cselect_b32 s0, -1, 0
	s_barrier_signal -1
	s_barrier_wait -1
	s_and_saveexec_b32 s1, vcc_lo
	s_delay_alu instid0(SALU_CYCLE_1)
	s_xor_b32 s1, exec_lo, s1
	s_cbranch_execz .LBB15_76
; %bb.73:
	v_cmp_eq_u32_e32 vcc_lo, 0x80, v0
	s_and_b32 s8, vcc_lo, s0
	s_delay_alu instid0(SALU_CYCLE_1)
	s_and_saveexec_b32 s2, s8
	s_cbranch_execz .LBB15_75
; %bb.74:
	v_mov_b32_e32 v2, 0
	ds_load_b32 v3, v1
	ds_load_b32 v2, v2 offset:4
	s_wait_dscnt 0x0
	v_max_u32_e32 v2, v3, v2
	ds_store_b32 v1, v2
.LBB15_75:
	s_or_b32 exec_lo, exec_lo, s2
                                        ; implicit-def: $vgpr2
.LBB15_76:
	s_and_not1_saveexec_b32 s1, s1
	s_cbranch_execz .LBB15_80
; %bb.77:
	v_cmp_eq_u32_e32 vcc_lo, 0, v0
	s_and_b32 s2, vcc_lo, s0
	s_delay_alu instid0(SALU_CYCLE_1)
	s_and_saveexec_b32 s0, s2
	s_cbranch_execz .LBB15_79
; %bb.78:
	v_mov_b32_e32 v1, 0
	ds_load_b32 v3, v2
	ds_load_b32 v1, v1 offset:1028
	s_wait_dscnt 0x0
	v_min_u32_e32 v1, v3, v1
	ds_store_b32 v2, v1
.LBB15_79:
	s_or_b32 exec_lo, exec_lo, s0
.LBB15_80:
	s_delay_alu instid0(SALU_CYCLE_1)
	s_or_b32 exec_lo, exec_lo, s1
	s_wait_dscnt 0x0
	s_barrier_signal -1
	s_barrier_wait -1
	s_mov_b32 s0, exec_lo
	v_cmpx_eq_u32_e32 0, v0
	s_cbranch_execz .LBB15_82
; %bb.81:
	v_dual_mov_b32 v0, 0 :: v_dual_mov_b32 v2, s3
	ds_load_2addr_stride64_b32 v[0:1], v0 offset1:4
	s_wait_dscnt 0x0
	s_clause 0x1
	global_store_b32 v2, v1, s[4:5] scale_offset
	global_store_b32 v2, v0, s[6:7] scale_offset
.LBB15_82:
	s_endpgm
.LBB15_83:
.LBB15_84:
	s_load_b32 s0, s[0:1], 0x20
	s_wait_xcnt 0x0
	s_lshl_b32 s1, s3, 8
	v_dual_mov_b32 v1, 0 :: v_dual_mov_b32 v2, 0
	v_add_nc_u32_e32 v3, s1, v0
	s_mov_b32 s11, 0
	s_sub_co_i32 s2, s2, s1
	s_mov_b32 s1, 0
	s_wait_kmcnt 0x0
	s_lshl_b32 s12, s0, 8
	s_branch .LBB15_86
.LBB15_85:                              ;   in Loop: Header=BB15_86 Depth=1
	s_or_b32 exec_lo, exec_lo, s14
	s_add_co_i32 s11, s11, s0
	v_add_nc_u32_e32 v3, s12, v3
	s_max_i32 s1, s1, s13
	s_add_co_i32 s13, s3, s11
	s_sub_co_i32 s2, s2, s12
	s_cmp_ge_i32 s13, s10
	s_cbranch_scc1 .LBB15_4
.LBB15_86:                              ; =>This Inner Loop Header: Depth=1
	s_min_i32 s13, s2, 0x100
	s_mov_b32 s14, exec_lo
	v_cmpx_gt_u32_e64 s13, v0
	s_cbranch_execz .LBB15_85
; %bb.87:                               ;   in Loop: Header=BB15_86 Depth=1
	global_load_b32 v4, v3, s[8:9] scale_offset
	s_cmp_eq_u32 s11, 0
	s_cselect_b32 vcc_lo, -1, 0
	s_wait_loadcnt 0x0
	v_max_u32_e32 v2, v4, v2
	v_min_u32_e32 v1, v4, v1
	s_delay_alu instid0(VALU_DEP_1)
	v_dual_cndmask_b32 v2, v2, v4 :: v_dual_cndmask_b32 v1, v1, v4
	s_branch .LBB15_85
	.section	.rodata,"a",@progbits
	.p2align	6, 0x0
	.amdhsa_kernel _Z23bitPackConfigScanKernelIjjEvPT_S1_PKT0_PKm
		.amdhsa_group_segment_fixed_size 2048
		.amdhsa_private_segment_fixed_size 0
		.amdhsa_kernarg_size 288
		.amdhsa_user_sgpr_count 2
		.amdhsa_user_sgpr_dispatch_ptr 0
		.amdhsa_user_sgpr_queue_ptr 0
		.amdhsa_user_sgpr_kernarg_segment_ptr 1
		.amdhsa_user_sgpr_dispatch_id 0
		.amdhsa_user_sgpr_kernarg_preload_length 0
		.amdhsa_user_sgpr_kernarg_preload_offset 0
		.amdhsa_user_sgpr_private_segment_size 0
		.amdhsa_wavefront_size32 1
		.amdhsa_uses_dynamic_stack 0
		.amdhsa_enable_private_segment 0
		.amdhsa_system_sgpr_workgroup_id_x 1
		.amdhsa_system_sgpr_workgroup_id_y 0
		.amdhsa_system_sgpr_workgroup_id_z 0
		.amdhsa_system_sgpr_workgroup_info 0
		.amdhsa_system_vgpr_workitem_id 0
		.amdhsa_next_free_vgpr 6
		.amdhsa_next_free_sgpr 15
		.amdhsa_named_barrier_count 0
		.amdhsa_reserve_vcc 1
		.amdhsa_float_round_mode_32 0
		.amdhsa_float_round_mode_16_64 0
		.amdhsa_float_denorm_mode_32 3
		.amdhsa_float_denorm_mode_16_64 3
		.amdhsa_fp16_overflow 0
		.amdhsa_memory_ordered 1
		.amdhsa_forward_progress 1
		.amdhsa_inst_pref_size 15
		.amdhsa_round_robin_scheduling 0
		.amdhsa_exception_fp_ieee_invalid_op 0
		.amdhsa_exception_fp_denorm_src 0
		.amdhsa_exception_fp_ieee_div_zero 0
		.amdhsa_exception_fp_ieee_overflow 0
		.amdhsa_exception_fp_ieee_underflow 0
		.amdhsa_exception_fp_ieee_inexact 0
		.amdhsa_exception_int_div_zero 0
	.end_amdhsa_kernel
	.section	.text._Z23bitPackConfigScanKernelIjjEvPT_S1_PKT0_PKm,"axG",@progbits,_Z23bitPackConfigScanKernelIjjEvPT_S1_PKT0_PKm,comdat
.Lfunc_end15:
	.size	_Z23bitPackConfigScanKernelIjjEvPT_S1_PKT0_PKm, .Lfunc_end15-_Z23bitPackConfigScanKernelIjjEvPT_S1_PKT0_PKm
                                        ; -- End function
	.set _Z23bitPackConfigScanKernelIjjEvPT_S1_PKT0_PKm.num_vgpr, 6
	.set _Z23bitPackConfigScanKernelIjjEvPT_S1_PKT0_PKm.num_agpr, 0
	.set _Z23bitPackConfigScanKernelIjjEvPT_S1_PKT0_PKm.numbered_sgpr, 15
	.set _Z23bitPackConfigScanKernelIjjEvPT_S1_PKT0_PKm.num_named_barrier, 0
	.set _Z23bitPackConfigScanKernelIjjEvPT_S1_PKT0_PKm.private_seg_size, 0
	.set _Z23bitPackConfigScanKernelIjjEvPT_S1_PKT0_PKm.uses_vcc, 1
	.set _Z23bitPackConfigScanKernelIjjEvPT_S1_PKT0_PKm.uses_flat_scratch, 0
	.set _Z23bitPackConfigScanKernelIjjEvPT_S1_PKT0_PKm.has_dyn_sized_stack, 0
	.set _Z23bitPackConfigScanKernelIjjEvPT_S1_PKT0_PKm.has_recursion, 0
	.set _Z23bitPackConfigScanKernelIjjEvPT_S1_PKT0_PKm.has_indirect_call, 0
	.section	.AMDGPU.csdata,"",@progbits
; Kernel info:
; codeLenInByte = 1880
; TotalNumSgprs: 17
; NumVgprs: 6
; ScratchSize: 0
; MemoryBound: 0
; FloatMode: 240
; IeeeMode: 1
; LDSByteSize: 2048 bytes/workgroup (compile time only)
; SGPRBlocks: 0
; VGPRBlocks: 0
; NumSGPRsForWavesPerEU: 17
; NumVGPRsForWavesPerEU: 6
; NamedBarCnt: 0
; Occupancy: 16
; WaveLimiterHint : 0
; COMPUTE_PGM_RSRC2:SCRATCH_EN: 0
; COMPUTE_PGM_RSRC2:USER_SGPR: 2
; COMPUTE_PGM_RSRC2:TRAP_HANDLER: 0
; COMPUTE_PGM_RSRC2:TGID_X_EN: 1
; COMPUTE_PGM_RSRC2:TGID_Y_EN: 0
; COMPUTE_PGM_RSRC2:TGID_Z_EN: 0
; COMPUTE_PGM_RSRC2:TIDIG_COMP_CNT: 0
	.section	.text._Z27bitPackConfigFinalizeKernelIjjEvPKT_S2_PhPT0_PKm,"axG",@progbits,_Z27bitPackConfigFinalizeKernelIjjEvPKT_S2_PhPT0_PKm,comdat
	.protected	_Z27bitPackConfigFinalizeKernelIjjEvPKT_S2_PhPT0_PKm ; -- Begin function _Z27bitPackConfigFinalizeKernelIjjEvPKT_S2_PhPT0_PKm
	.globl	_Z27bitPackConfigFinalizeKernelIjjEvPKT_S2_PhPT0_PKm
	.p2align	8
	.type	_Z27bitPackConfigFinalizeKernelIjjEvPKT_S2_PhPT0_PKm,@function
_Z27bitPackConfigFinalizeKernelIjjEvPKT_S2_PhPT0_PKm: ; @_Z27bitPackConfigFinalizeKernelIjjEvPKT_S2_PhPT0_PKm
; %bb.0:
	s_load_b64 s[2:3], s[0:1], 0x20
	s_wait_kmcnt 0x0
	s_load_b64 s[2:3], s[2:3], 0x0
	s_wait_kmcnt 0x0
	s_and_b64 s[4:5], s[2:3], 0xff
	s_lshr_b64 s[2:3], s[2:3], 8
	s_cmp_lg_u64 s[4:5], 0
	s_mov_b32 s4, 0
	s_cselect_b32 s5, -1, 0
	v_mov_b32_e32 v3, s4
	v_cndmask_b32_e64 v2, 0, 1, s5
	s_load_b256 s[4:11], s[0:1], 0x0
	s_wait_xcnt 0x0
	s_mov_b32 s1, exec_lo
	s_delay_alu instid0(VALU_DEP_1) | instskip(NEXT) | instid1(VALU_DEP_1)
	v_add_nc_u64_e32 v[2:3], s[2:3], v[2:3]
	v_min_u64 v[4:5], 0x1000, v[2:3]
	s_delay_alu instid0(VALU_DEP_1)
	v_cmpx_lt_u32_e64 v0, v4
	s_cbranch_execz .LBB16_6
; %bb.1:
	s_wait_kmcnt 0x0
	s_clause 0x1
	global_load_b32 v1, v0, s[4:5] scale_offset
	global_load_b32 v5, v0, s[6:7] scale_offset
	v_add_nc_u32_e32 v10, 0x100, v0
	s_mov_b32 s2, exec_lo
	s_wait_xcnt 0x0
	s_delay_alu instid0(VALU_DEP_1)
	v_cmpx_lt_u32_e64 v10, v4
	s_cbranch_execz .LBB16_5
; %bb.2:
	v_dual_mov_b32 v7, 0 :: v_dual_lshlrev_b32 v6, 2, v0
	s_mov_b32 s3, 0
	s_delay_alu instid0(VALU_DEP_1) | instskip(NEXT) | instid1(VALU_DEP_1)
	v_add_nc_u64_e32 v[8:9], 0x400, v[6:7]
	v_add_nc_u64_e32 v[6:7], s[4:5], v[8:9]
	;; [unrolled: 1-line block ×3, first 2 shown]
.LBB16_3:                               ; =>This Inner Loop Header: Depth=1
	global_load_b32 v11, v[6:7], off
	global_load_b32 v12, v[8:9], off
	v_add_nc_u32_e32 v13, 0x100, v10
	v_cmp_lt_u32_e32 vcc_lo, 0xeff, v10
	s_wait_xcnt 0x1
	v_add_nc_u64_e32 v[6:7], 0x400, v[6:7]
	s_wait_xcnt 0x0
	v_add_nc_u64_e32 v[8:9], 0x400, v[8:9]
	v_cmp_ge_u32_e64 s0, v13, v4
	v_mov_b32_e32 v10, v13
	s_or_b32 s0, vcc_lo, s0
	s_delay_alu instid0(SALU_CYCLE_1) | instskip(NEXT) | instid1(SALU_CYCLE_1)
	s_and_b32 s0, exec_lo, s0
	s_or_b32 s3, s0, s3
	s_wait_loadcnt 0x1
	v_min_u32_e32 v1, v11, v1
	s_wait_loadcnt 0x0
	v_max_u32_e32 v5, v12, v5
	s_and_not1_b32 exec_lo, exec_lo, s3
	s_cbranch_execnz .LBB16_3
; %bb.4:
	s_or_b32 exec_lo, exec_lo, s3
.LBB16_5:
	s_delay_alu instid0(SALU_CYCLE_1)
	s_or_b32 exec_lo, exec_lo, s2
	v_lshlrev_b32_e32 v6, 2, v0
	s_wait_loadcnt 0x0
	ds_store_2addr_stride64_b32 v6, v5, v1 offset1:4
.LBB16_6:
	s_or_b32 exec_lo, exec_lo, s1
	v_lshlrev_b32_e32 v6, 2, v0
	v_min_u32_e32 v5, 0x100, v4
	v_cmp_lt_u32_e32 vcc_lo, 0x7f, v0
	s_wait_dscnt 0x0
	s_barrier_signal -1
	v_add_nc_u32_e32 v1, 0xfffffe00, v6
	s_barrier_wait -1
	s_and_saveexec_b32 s0, vcc_lo
	s_delay_alu instid0(SALU_CYCLE_1)
	s_xor_b32 s1, exec_lo, s0
	s_cbranch_execz .LBB16_10
; %bb.7:
	s_mov_b32 s2, exec_lo
	v_cmpx_lt_u32_e64 v0, v5
	s_cbranch_execz .LBB16_9
; %bb.8:
	ds_load_b32 v4, v1
	ds_load_b32 v7, v6
	s_wait_dscnt 0x0
	v_max_u32_e32 v4, v4, v7
	ds_store_b32 v1, v4
.LBB16_9:
	s_or_b32 exec_lo, exec_lo, s2
.LBB16_10:
	s_or_saveexec_b32 s1, s1
	v_add_nc_u32_e32 v4, 0x400, v6
	s_xor_b32 exec_lo, exec_lo, s1
	s_cbranch_execz .LBB16_14
; %bb.11:
	v_or_b32_e32 v7, 0x80, v0
	s_mov_b32 s2, exec_lo
	s_delay_alu instid0(VALU_DEP_1)
	v_cmpx_lt_u32_e64 v7, v5
	s_cbranch_execz .LBB16_13
; %bb.12:
	ds_load_2addr_stride64_b32 v[8:9], v4 offset1:2
	s_wait_dscnt 0x0
	v_min_u32_e32 v7, v8, v9
	ds_store_b32 v4, v7
.LBB16_13:
	s_or_b32 exec_lo, exec_lo, s2
.LBB16_14:
	s_delay_alu instid0(SALU_CYCLE_1) | instskip(SKIP_4) | instid1(SALU_CYCLE_1)
	s_or_b32 exec_lo, exec_lo, s1
	s_wait_dscnt 0x0
	s_barrier_signal -1
	s_barrier_wait -1
	s_and_saveexec_b32 s0, vcc_lo
	s_xor_b32 s1, exec_lo, s0
	s_cbranch_execz .LBB16_19
; %bb.15:
	s_mov_b32 s2, exec_lo
	v_cmpx_gt_u32_e32 0xc0, v0
	s_cbranch_execz .LBB16_18
; %bb.16:
	v_subrev_nc_u32_e32 v7, 64, v0
	s_delay_alu instid0(VALU_DEP_1)
	v_cmp_lt_u32_e64 s0, v7, v5
	s_and_b32 exec_lo, exec_lo, s0
	s_cbranch_execz .LBB16_18
; %bb.17:
	v_add_nc_u32_e32 v7, 0xffffff00, v6
	ds_load_b32 v8, v1
	ds_load_b32 v7, v7
	s_wait_dscnt 0x0
	v_max_u32_e32 v7, v8, v7
	ds_store_b32 v1, v7
.LBB16_18:
	s_or_b32 exec_lo, exec_lo, s2
.LBB16_19:
	s_and_not1_saveexec_b32 s1, s1
	s_cbranch_execz .LBB16_24
; %bb.20:
	s_mov_b32 s2, exec_lo
	v_cmpx_gt_u32_e32 64, v0
	s_cbranch_execz .LBB16_23
; %bb.21:
	v_or_b32_e32 v7, 64, v0
	s_delay_alu instid0(VALU_DEP_1)
	v_cmp_lt_u32_e64 s0, v7, v5
	s_and_b32 exec_lo, exec_lo, s0
	s_cbranch_execz .LBB16_23
; %bb.22:
	ds_load_2addr_stride64_b32 v[8:9], v4 offset1:1
	s_wait_dscnt 0x0
	v_min_u32_e32 v7, v8, v9
	ds_store_b32 v4, v7
.LBB16_23:
	s_or_b32 exec_lo, exec_lo, s2
.LBB16_24:
	s_delay_alu instid0(SALU_CYCLE_1) | instskip(SKIP_4) | instid1(SALU_CYCLE_1)
	s_or_b32 exec_lo, exec_lo, s1
	s_wait_dscnt 0x0
	s_barrier_signal -1
	s_barrier_wait -1
	s_and_saveexec_b32 s0, vcc_lo
	s_xor_b32 s1, exec_lo, s0
	s_cbranch_execz .LBB16_29
; %bb.25:
	s_mov_b32 s2, exec_lo
	v_cmpx_gt_u32_e32 0xa0, v0
	s_cbranch_execz .LBB16_28
; %bb.26:
	v_add_nc_u32_e32 v7, 0xffffffa0, v0
	s_delay_alu instid0(VALU_DEP_1)
	v_cmp_lt_u32_e64 s0, v7, v5
	s_and_b32 exec_lo, exec_lo, s0
	s_cbranch_execz .LBB16_28
; %bb.27:
	v_add_nc_u32_e32 v7, 0xfffffe80, v6
	ds_load_b32 v8, v1
	ds_load_b32 v7, v7
	s_wait_dscnt 0x0
	v_max_u32_e32 v7, v8, v7
	ds_store_b32 v1, v7
.LBB16_28:
	s_or_b32 exec_lo, exec_lo, s2
.LBB16_29:
	s_and_not1_saveexec_b32 s1, s1
	s_cbranch_execz .LBB16_34
; %bb.30:
	s_mov_b32 s2, exec_lo
	v_cmpx_gt_u32_e32 32, v0
	s_cbranch_execz .LBB16_33
; %bb.31:
	v_or_b32_e32 v7, 32, v0
	s_delay_alu instid0(VALU_DEP_1)
	v_cmp_lt_u32_e64 s0, v7, v5
	s_and_b32 exec_lo, exec_lo, s0
	s_cbranch_execz .LBB16_33
; %bb.32:
	ds_load_2addr_b32 v[8:9], v4 offset1:32
	s_wait_dscnt 0x0
	v_min_u32_e32 v7, v8, v9
	ds_store_b32 v4, v7
.LBB16_33:
	s_or_b32 exec_lo, exec_lo, s2
.LBB16_34:
	s_delay_alu instid0(SALU_CYCLE_1) | instskip(SKIP_4) | instid1(SALU_CYCLE_1)
	s_or_b32 exec_lo, exec_lo, s1
	s_wait_dscnt 0x0
	s_barrier_signal -1
	s_barrier_wait -1
	s_and_saveexec_b32 s0, vcc_lo
	s_xor_b32 s1, exec_lo, s0
	s_cbranch_execz .LBB16_39
; %bb.35:
	s_mov_b32 s2, exec_lo
	v_cmpx_gt_u32_e32 0x90, v0
	s_cbranch_execz .LBB16_38
; %bb.36:
	v_add_nc_u32_e32 v7, 0xffffff90, v0
	s_delay_alu instid0(VALU_DEP_1)
	v_cmp_lt_u32_e64 s0, v7, v5
	s_and_b32 exec_lo, exec_lo, s0
	s_cbranch_execz .LBB16_38
; %bb.37:
	v_add_nc_u32_e32 v7, 0xfffffe40, v6
	ds_load_b32 v8, v1
	ds_load_b32 v7, v7
	s_wait_dscnt 0x0
	v_max_u32_e32 v7, v8, v7
	ds_store_b32 v1, v7
.LBB16_38:
	s_or_b32 exec_lo, exec_lo, s2
.LBB16_39:
	s_and_not1_saveexec_b32 s1, s1
	s_cbranch_execz .LBB16_44
; %bb.40:
	s_mov_b32 s2, exec_lo
	v_cmpx_gt_u32_e32 16, v0
	s_cbranch_execz .LBB16_43
; %bb.41:
	v_or_b32_e32 v7, 16, v0
	s_delay_alu instid0(VALU_DEP_1)
	v_cmp_lt_u32_e64 s0, v7, v5
	s_and_b32 exec_lo, exec_lo, s0
	s_cbranch_execz .LBB16_43
; %bb.42:
	ds_load_2addr_b32 v[8:9], v4 offset1:16
	s_wait_dscnt 0x0
	v_min_u32_e32 v7, v8, v9
	ds_store_b32 v4, v7
.LBB16_43:
	s_or_b32 exec_lo, exec_lo, s2
.LBB16_44:
	;; [unrolled: 48-line block ×4, first 2 shown]
	s_delay_alu instid0(SALU_CYCLE_1) | instskip(SKIP_4) | instid1(SALU_CYCLE_1)
	s_or_b32 exec_lo, exec_lo, s1
	s_wait_dscnt 0x0
	s_barrier_signal -1
	s_barrier_wait -1
	s_and_saveexec_b32 s0, vcc_lo
	s_xor_b32 s1, exec_lo, s0
	s_cbranch_execz .LBB16_69
; %bb.65:
	s_mov_b32 s2, exec_lo
	v_cmpx_gt_u32_e32 0x82, v0
	s_cbranch_execz .LBB16_68
; %bb.66:
	v_add_nc_u32_e32 v7, 0xffffff82, v0
	s_delay_alu instid0(VALU_DEP_1)
	v_cmp_lt_u32_e64 s0, v7, v5
	s_and_b32 exec_lo, exec_lo, s0
	s_cbranch_execz .LBB16_68
; %bb.67:
	v_add_nc_u32_e32 v5, 0xfffffe08, v6
	ds_load_b32 v6, v1
	ds_load_b32 v5, v5
	s_wait_dscnt 0x0
	v_max_u32_e32 v5, v6, v5
	ds_store_b32 v1, v5
.LBB16_68:
	s_or_b32 exec_lo, exec_lo, s2
                                        ; implicit-def: $vgpr5
.LBB16_69:
	s_and_not1_saveexec_b32 s1, s1
	s_cbranch_execz .LBB16_74
; %bb.70:
	s_mov_b32 s2, exec_lo
	v_cmpx_gt_u32_e32 2, v0
	s_cbranch_execz .LBB16_73
; %bb.71:
	v_or_b32_e32 v6, 2, v0
	s_delay_alu instid0(VALU_DEP_1)
	v_cmp_lt_u32_e64 s0, v6, v5
	s_and_b32 exec_lo, exec_lo, s0
	s_cbranch_execz .LBB16_73
; %bb.72:
	ds_load_2addr_b32 v[6:7], v4 offset1:2
	s_wait_dscnt 0x0
	v_min_u32_e32 v5, v6, v7
	ds_store_b32 v4, v5
.LBB16_73:
	s_or_b32 exec_lo, exec_lo, s2
.LBB16_74:
	s_delay_alu instid0(SALU_CYCLE_1)
	s_or_b32 exec_lo, exec_lo, s1
	v_cmp_lt_u64_e64 s0, 1, v[2:3]
	s_wait_dscnt 0x0
	s_barrier_signal -1
	s_barrier_wait -1
	s_and_saveexec_b32 s1, vcc_lo
	s_delay_alu instid0(SALU_CYCLE_1)
	s_xor_b32 s1, exec_lo, s1
	s_cbranch_execz .LBB16_78
; %bb.75:
	v_cmp_eq_u32_e32 vcc_lo, 0x80, v0
	s_and_b32 s3, vcc_lo, s0
	s_delay_alu instid0(SALU_CYCLE_1)
	s_and_saveexec_b32 s2, s3
	s_cbranch_execz .LBB16_77
; %bb.76:
	v_mov_b32_e32 v2, 0
	ds_load_b32 v3, v1
	ds_load_b32 v2, v2 offset:4
	s_wait_dscnt 0x0
	v_max_u32_e32 v2, v3, v2
	ds_store_b32 v1, v2
.LBB16_77:
	s_or_b32 exec_lo, exec_lo, s2
                                        ; implicit-def: $vgpr4
.LBB16_78:
	s_and_not1_saveexec_b32 s1, s1
	s_cbranch_execz .LBB16_82
; %bb.79:
	v_cmp_eq_u32_e32 vcc_lo, 0, v0
	s_and_b32 s2, vcc_lo, s0
	s_delay_alu instid0(SALU_CYCLE_1)
	s_and_saveexec_b32 s0, s2
	s_cbranch_execz .LBB16_81
; %bb.80:
	v_mov_b32_e32 v1, 0
	ds_load_b32 v2, v4
	ds_load_b32 v1, v1 offset:1028
	s_wait_dscnt 0x0
	v_min_u32_e32 v1, v2, v1
	ds_store_b32 v4, v1
.LBB16_81:
	s_or_b32 exec_lo, exec_lo, s0
.LBB16_82:
	s_delay_alu instid0(SALU_CYCLE_1)
	s_or_b32 exec_lo, exec_lo, s1
	s_wait_dscnt 0x0
	s_barrier_signal -1
	s_barrier_wait -1
	s_mov_b32 s0, exec_lo
	v_cmpx_eq_u32_e32 0, v0
	s_cbranch_execz .LBB16_84
; %bb.83:
	v_mov_b32_e32 v2, 0
	ds_load_2addr_stride64_b32 v[0:1], v2 offset1:4
	s_wait_dscnt 0x0
	v_sub_nc_u32_e32 v0, v0, v1
	s_delay_alu instid0(VALU_DEP_1) | instskip(NEXT) | instid1(VALU_DEP_1)
	v_clz_i32_u32_e32 v0, v0
	v_min_u32_e32 v0, 0xffff, v0
	s_delay_alu instid0(VALU_DEP_1)
	v_sub_nc_u16 v0, 32, v0 clamp
	s_wait_kmcnt 0x0
	s_clause 0x1
	global_store_b32 v2, v1, s[10:11]
	global_store_b8 v2, v0, s[8:9]
.LBB16_84:
	s_endpgm
	.section	.rodata,"a",@progbits
	.p2align	6, 0x0
	.amdhsa_kernel _Z27bitPackConfigFinalizeKernelIjjEvPKT_S2_PhPT0_PKm
		.amdhsa_group_segment_fixed_size 2048
		.amdhsa_private_segment_fixed_size 0
		.amdhsa_kernarg_size 40
		.amdhsa_user_sgpr_count 2
		.amdhsa_user_sgpr_dispatch_ptr 0
		.amdhsa_user_sgpr_queue_ptr 0
		.amdhsa_user_sgpr_kernarg_segment_ptr 1
		.amdhsa_user_sgpr_dispatch_id 0
		.amdhsa_user_sgpr_kernarg_preload_length 0
		.amdhsa_user_sgpr_kernarg_preload_offset 0
		.amdhsa_user_sgpr_private_segment_size 0
		.amdhsa_wavefront_size32 1
		.amdhsa_uses_dynamic_stack 0
		.amdhsa_enable_private_segment 0
		.amdhsa_system_sgpr_workgroup_id_x 1
		.amdhsa_system_sgpr_workgroup_id_y 0
		.amdhsa_system_sgpr_workgroup_id_z 0
		.amdhsa_system_sgpr_workgroup_info 0
		.amdhsa_system_vgpr_workitem_id 0
		.amdhsa_next_free_vgpr 14
		.amdhsa_next_free_sgpr 12
		.amdhsa_named_barrier_count 0
		.amdhsa_reserve_vcc 1
		.amdhsa_float_round_mode_32 0
		.amdhsa_float_round_mode_16_64 0
		.amdhsa_float_denorm_mode_32 3
		.amdhsa_float_denorm_mode_16_64 3
		.amdhsa_fp16_overflow 0
		.amdhsa_memory_ordered 1
		.amdhsa_forward_progress 1
		.amdhsa_inst_pref_size 16
		.amdhsa_round_robin_scheduling 0
		.amdhsa_exception_fp_ieee_invalid_op 0
		.amdhsa_exception_fp_denorm_src 0
		.amdhsa_exception_fp_ieee_div_zero 0
		.amdhsa_exception_fp_ieee_overflow 0
		.amdhsa_exception_fp_ieee_underflow 0
		.amdhsa_exception_fp_ieee_inexact 0
		.amdhsa_exception_int_div_zero 0
	.end_amdhsa_kernel
	.section	.text._Z27bitPackConfigFinalizeKernelIjjEvPKT_S2_PhPT0_PKm,"axG",@progbits,_Z27bitPackConfigFinalizeKernelIjjEvPKT_S2_PhPT0_PKm,comdat
.Lfunc_end16:
	.size	_Z27bitPackConfigFinalizeKernelIjjEvPKT_S2_PhPT0_PKm, .Lfunc_end16-_Z27bitPackConfigFinalizeKernelIjjEvPKT_S2_PhPT0_PKm
                                        ; -- End function
	.set _Z27bitPackConfigFinalizeKernelIjjEvPKT_S2_PhPT0_PKm.num_vgpr, 14
	.set _Z27bitPackConfigFinalizeKernelIjjEvPKT_S2_PhPT0_PKm.num_agpr, 0
	.set _Z27bitPackConfigFinalizeKernelIjjEvPKT_S2_PhPT0_PKm.numbered_sgpr, 12
	.set _Z27bitPackConfigFinalizeKernelIjjEvPKT_S2_PhPT0_PKm.num_named_barrier, 0
	.set _Z27bitPackConfigFinalizeKernelIjjEvPKT_S2_PhPT0_PKm.private_seg_size, 0
	.set _Z27bitPackConfigFinalizeKernelIjjEvPKT_S2_PhPT0_PKm.uses_vcc, 1
	.set _Z27bitPackConfigFinalizeKernelIjjEvPKT_S2_PhPT0_PKm.uses_flat_scratch, 0
	.set _Z27bitPackConfigFinalizeKernelIjjEvPKT_S2_PhPT0_PKm.has_dyn_sized_stack, 0
	.set _Z27bitPackConfigFinalizeKernelIjjEvPKT_S2_PhPT0_PKm.has_recursion, 0
	.set _Z27bitPackConfigFinalizeKernelIjjEvPKT_S2_PhPT0_PKm.has_indirect_call, 0
	.section	.AMDGPU.csdata,"",@progbits
; Kernel info:
; codeLenInByte = 1980
; TotalNumSgprs: 14
; NumVgprs: 14
; ScratchSize: 0
; MemoryBound: 0
; FloatMode: 240
; IeeeMode: 1
; LDSByteSize: 2048 bytes/workgroup (compile time only)
; SGPRBlocks: 0
; VGPRBlocks: 0
; NumSGPRsForWavesPerEU: 14
; NumVGPRsForWavesPerEU: 14
; NamedBarCnt: 0
; Occupancy: 16
; WaveLimiterHint : 0
; COMPUTE_PGM_RSRC2:SCRATCH_EN: 0
; COMPUTE_PGM_RSRC2:USER_SGPR: 2
; COMPUTE_PGM_RSRC2:TRAP_HANDLER: 0
; COMPUTE_PGM_RSRC2:TGID_X_EN: 1
; COMPUTE_PGM_RSRC2:TGID_Y_EN: 0
; COMPUTE_PGM_RSRC2:TGID_Z_EN: 0
; COMPUTE_PGM_RSRC2:TIDIG_COMP_CNT: 0
	.section	.text._Z13bitPackKernelIjjEvPKhPKT_PT0_S4_PKm,"axG",@progbits,_Z13bitPackKernelIjjEvPKhPKT_PT0_S4_PKm,comdat
	.protected	_Z13bitPackKernelIjjEvPKhPKT_PT0_S4_PKm ; -- Begin function _Z13bitPackKernelIjjEvPKhPKT_PT0_S4_PKm
	.globl	_Z13bitPackKernelIjjEvPKhPKT_PT0_S4_PKm
	.p2align	8
	.type	_Z13bitPackKernelIjjEvPKhPKT_PT0_S4_PKm,@function
_Z13bitPackKernelIjjEvPKhPKT_PT0_S4_PKm: ; @_Z13bitPackKernelIjjEvPKhPKT_PT0_S4_PKm
; %bb.0:
	s_load_b64 s[2:3], s[0:1], 0x20
	s_mov_b32 s13, 0
	s_wait_kmcnt 0x0
	s_load_b64 s[2:3], s[2:3], 0x0
	s_wait_kmcnt 0x0
	s_and_b64 s[4:5], s[2:3], 0xff
	s_lshr_b64 s[6:7], s[2:3], 8
	s_cmp_lg_u64 s[4:5], 0
	s_cselect_b32 s4, -1, 0
	s_delay_alu instid0(SALU_CYCLE_1)
	s_cmp_lg_u32 s4, 0
	s_add_co_ci_u32 s20, s6, 0
	s_bfe_u32 s4, ttmp6, 0x4000c
	s_and_b32 s5, ttmp6, 15
	s_add_co_i32 s4, s4, 1
	s_getreg_b32 s6, hwreg(HW_REG_IB_STS2, 6, 4)
	s_mul_i32 s4, ttmp9, s4
	s_delay_alu instid0(SALU_CYCLE_1) | instskip(SKIP_2) | instid1(SALU_CYCLE_1)
	s_add_co_i32 s5, s5, s4
	s_cmp_eq_u32 s6, 0
	s_cselect_b32 s21, ttmp9, s5
	s_cmp_ge_i32 s21, s20
	s_cbranch_scc1 .LBB17_37
; %bb.1:
	s_load_b256 s[4:11], s[0:1], 0x0
	v_mov_b32_e32 v2, 0
	s_wait_xcnt 0x0
	s_load_b32 s1, s[0:1], 0x28
	v_lshlrev_b32_e32 v5, 5, v0
	s_delay_alu instid0(VALU_DEP_1) | instskip(NEXT) | instid1(VALU_DEP_1)
	v_lshl_add_u32 v22, s21, 13, v5
	v_dual_lshlrev_b32 v23, 2, v0 :: v_dual_sub_nc_u32 v24, 0, v22
	s_wait_kmcnt 0x0
	global_load_u8 v1, v2, s[4:5]
	s_load_b32 s22, s[6:7], 0x0
	s_wait_xcnt 0x0
	s_bfe_i64 s[6:7], s[2:3], 0x200000
	s_lshl_b32 s23, s1, 13
	s_wait_loadcnt 0x0
	v_readfirstlane_b32 s12, v1
	v_and_b32_e32 v25, 0xff, v1
	s_and_b64 s[4:5], s[12:13], 0xff
	s_delay_alu instid0(SALU_CYCLE_1) | instskip(SKIP_2) | instid1(VALU_DEP_1)
	v_cvt_f32_ubyte0_e32 v3, s4
	s_sub_nc_u64 s[14:15], 0, s[4:5]
	s_sub_co_i32 s24, 0, s4
	v_fmac_f32_e64 v3, 0x4f800000, 0
	s_delay_alu instid0(VALU_DEP_1) | instskip(SKIP_1) | instid1(TRANS32_DEP_1)
	v_rcp_f32_e32 v3, v3
	v_nop
	v_mul_f32_e32 v3, 0x5f7ffffc, v3
	s_delay_alu instid0(VALU_DEP_1) | instskip(NEXT) | instid1(VALU_DEP_1)
	v_mul_f32_e32 v4, 0x2f800000, v3
	v_trunc_f32_e32 v6, v4
	s_delay_alu instid0(VALU_DEP_1) | instskip(SKIP_1) | instid1(VALU_DEP_2)
	v_fmac_f32_e32 v3, 0xcf800000, v6
	v_cvt_u32_f32_e32 v5, v6
	v_cvt_u32_f32_e32 v4, v3
	s_branch .LBB17_3
.LBB17_2:                               ;   in Loop: Header=BB17_3 Depth=1
	s_wait_xcnt 0x0
	s_or_b32 exec_lo, exec_lo, s0
	v_subrev_nc_u32_e32 v24, s23, v24
	v_add_nc_u32_e32 v22, s23, v22
	s_add_co_i32 s21, s1, s21
	s_delay_alu instid0(SALU_CYCLE_1)
	s_cmp_ge_i32 s21, s20
	s_cbranch_scc1 .LBB17_37
.LBB17_3:                               ; =>This Loop Header: Depth=1
                                        ;     Child Loop BB17_19 Depth 2
                                        ;       Child Loop BB17_24 Depth 3
                                        ;       Child Loop BB17_28 Depth 3
	s_lshl_b32 s16, s21, 8
                                        ; implicit-def: $vgpr10_vgpr11
	s_mov_b32 s0, exec_lo
	v_add_nc_u32_e32 v6, s16, v0
	s_delay_alu instid0(VALU_DEP_1) | instskip(NEXT) | instid1(VALU_DEP_1)
	v_ashrrev_i32_e32 v7, 31, v6
	v_lshlrev_b64_e32 v[8:9], 5, v[6:7]
	s_delay_alu instid0(VALU_DEP_1) | instskip(NEXT) | instid1(VALU_DEP_1)
	v_mov_b32_e32 v3, v9
	v_cmpx_ne_u64_e32 0, v[2:3]
	s_xor_b32 s12, exec_lo, s0
	s_cbranch_execz .LBB17_5
; %bb.4:                                ;   in Loop: Header=BB17_3 Depth=1
	v_mul_u64_e32 v[10:11], s[14:15], v[4:5]
	v_dual_mov_b32 v15, v2 :: v_dual_mov_b32 v17, v2
	s_delay_alu instid0(VALU_DEP_2) | instskip(SKIP_1) | instid1(VALU_DEP_4)
	v_mul_hi_u32 v13, v4, v11
	v_mul_lo_u32 v12, v4, v11
	v_mul_hi_u32 v14, v4, v10
	v_mul_lo_u32 v1, v5, v10
	v_mul_hi_u32 v3, v5, v10
	v_mul_hi_u32 v16, v5, v11
	v_mul_lo_u32 v10, v5, v11
	v_add_nc_u64_e32 v[12:13], v[14:15], v[12:13]
	s_delay_alu instid0(VALU_DEP_1) | instskip(NEXT) | instid1(VALU_DEP_2)
	v_add_co_u32 v1, vcc_lo, v12, v1
	v_add_co_ci_u32_e32 v14, vcc_lo, v13, v3, vcc_lo
	v_add_co_ci_u32_e32 v11, vcc_lo, 0, v16, vcc_lo
	s_delay_alu instid0(VALU_DEP_1) | instskip(NEXT) | instid1(VALU_DEP_1)
	v_add_nc_u64_e32 v[10:11], v[14:15], v[10:11]
	v_add_co_u32 v10, vcc_lo, v4, v10
	s_delay_alu instid0(VALU_DEP_1) | instskip(NEXT) | instid1(VALU_DEP_1)
	v_add_co_ci_u32_e64 v11, null, v5, v11, vcc_lo
	v_mul_u64_e32 v[12:13], s[14:15], v[10:11]
	s_delay_alu instid0(VALU_DEP_1) | instskip(SKIP_1) | instid1(VALU_DEP_3)
	v_mul_hi_u32 v15, v10, v13
	v_mul_lo_u32 v14, v10, v13
	v_mul_hi_u32 v16, v10, v12
	v_mul_lo_u32 v1, v11, v12
	v_mul_hi_u32 v3, v11, v12
	v_mul_hi_u32 v18, v11, v13
	v_mul_lo_u32 v12, v11, v13
	v_add_nc_u64_e32 v[14:15], v[16:17], v[14:15]
	s_delay_alu instid0(VALU_DEP_1) | instskip(NEXT) | instid1(VALU_DEP_2)
	v_add_co_u32 v1, vcc_lo, v14, v1
	v_add_co_ci_u32_e32 v16, vcc_lo, v15, v3, vcc_lo
	v_add_co_ci_u32_e32 v13, vcc_lo, 0, v18, vcc_lo
	v_mov_b32_e32 v15, v2
	s_delay_alu instid0(VALU_DEP_2) | instskip(SKIP_1) | instid1(VALU_DEP_2)
	v_add_nc_u64_e32 v[12:13], v[16:17], v[12:13]
	v_mov_b32_e32 v16, v8
	v_add_co_u32 v10, vcc_lo, v10, v12
	s_delay_alu instid0(VALU_DEP_1) | instskip(SKIP_2) | instid1(VALU_DEP_3)
	v_add_co_ci_u32_e64 v14, null, v11, v13, vcc_lo
	v_dual_mov_b32 v12, v9 :: v_dual_mov_b32 v13, v2
	v_mov_b32_e32 v11, v2
	v_mul_u64_e32 v[16:17], v[16:17], v[14:15]
	s_delay_alu instid0(VALU_DEP_2) | instskip(SKIP_2) | instid1(VALU_DEP_1)
	v_mul_u64_e32 v[18:19], v[12:13], v[10:11]
	v_mul_u64_e32 v[12:13], v[12:13], v[14:15]
	v_mul_hi_u32 v10, v8, v10
	v_add_nc_u64_e32 v[10:11], v[10:11], v[16:17]
	s_delay_alu instid0(VALU_DEP_1) | instskip(NEXT) | instid1(VALU_DEP_2)
	v_add_co_u32 v1, vcc_lo, v10, v18
	v_add_co_ci_u32_e32 v14, vcc_lo, v11, v19, vcc_lo
	v_add_co_ci_u32_e32 v13, vcc_lo, 0, v13, vcc_lo
	s_delay_alu instid0(VALU_DEP_1) | instskip(NEXT) | instid1(VALU_DEP_1)
	v_add_nc_u64_e32 v[10:11], v[14:15], v[12:13]
	v_mul_u64_e32 v[12:13], s[4:5], v[10:11]
	s_delay_alu instid0(VALU_DEP_1) | instskip(NEXT) | instid1(VALU_DEP_1)
	v_sub_co_u32 v1, vcc_lo, v8, v12
	v_sub_co_ci_u32_e64 v3, null, v9, v13, vcc_lo
	s_delay_alu instid0(VALU_DEP_2) | instskip(NEXT) | instid1(VALU_DEP_1)
	v_sub_co_u32 v12, vcc_lo, v1, s4
	v_subrev_co_ci_u32_e64 v14, null, 0, v3, vcc_lo
	v_cmp_eq_u32_e64 s0, 0, v3
	s_delay_alu instid0(VALU_DEP_3) | instskip(SKIP_3) | instid1(VALU_DEP_2)
	v_cmp_le_u32_e32 vcc_lo, s4, v12
	v_add_nc_u64_e32 v[12:13], 2, v[10:11]
	v_cndmask_b32_e64 v15, 0, -1, vcc_lo
	v_cmp_eq_u32_e32 vcc_lo, 0, v14
	v_cndmask_b32_e32 v16, -1, v15, vcc_lo
	v_cmp_le_u32_e32 vcc_lo, s4, v1
	v_add_nc_u64_e32 v[14:15], 1, v[10:11]
	v_cndmask_b32_e64 v1, 0, -1, vcc_lo
	s_delay_alu instid0(VALU_DEP_4) | instskip(NEXT) | instid1(VALU_DEP_2)
	v_cmp_ne_u32_e32 vcc_lo, 0, v16
	v_dual_cndmask_b32 v1, -1, v1, s0 :: v_dual_cndmask_b32 v12, v14, v12, vcc_lo
	s_delay_alu instid0(VALU_DEP_4) | instskip(NEXT) | instid1(VALU_DEP_2)
	v_cndmask_b32_e32 v3, v15, v13, vcc_lo
	v_cmp_ne_u32_e32 vcc_lo, 0, v1
	s_delay_alu instid0(VALU_DEP_2)
	v_dual_cndmask_b32 v10, v10, v12 :: v_dual_cndmask_b32 v11, v11, v3
.LBB17_5:                               ;   in Loop: Header=BB17_3 Depth=1
	s_or_saveexec_b32 s0, s12
	v_cvt_f32_u32_e32 v1, s4
	s_xor_b32 exec_lo, exec_lo, s0
	s_cbranch_execz .LBB17_7
; %bb.6:                                ;   in Loop: Header=BB17_3 Depth=1
	s_delay_alu instid0(VALU_DEP_1) | instskip(SKIP_1) | instid1(TRANS32_DEP_1)
	v_rcp_iflag_f32_e32 v3, v1
	v_nop
	v_mul_f32_e32 v3, 0x4f7ffffe, v3
	s_delay_alu instid0(VALU_DEP_1) | instskip(NEXT) | instid1(VALU_DEP_1)
	v_cvt_u32_f32_e32 v3, v3
	v_mul_lo_u32 v10, s24, v3
	s_delay_alu instid0(VALU_DEP_1) | instskip(NEXT) | instid1(VALU_DEP_1)
	v_mul_hi_u32 v10, v3, v10
	v_add_nc_u32_e32 v3, v3, v10
	s_delay_alu instid0(VALU_DEP_1) | instskip(NEXT) | instid1(VALU_DEP_1)
	v_mul_hi_u32 v3, v8, v3
	v_mul_lo_u32 v10, v3, s4
	s_delay_alu instid0(VALU_DEP_1) | instskip(NEXT) | instid1(VALU_DEP_1)
	v_dual_add_nc_u32 v11, 1, v3 :: v_dual_sub_nc_u32 v10, v8, v10
	v_subrev_nc_u32_e32 v12, s4, v10
	v_cmp_le_u32_e32 vcc_lo, s4, v10
	s_delay_alu instid0(VALU_DEP_2) | instskip(NEXT) | instid1(VALU_DEP_1)
	v_dual_cndmask_b32 v10, v10, v12 :: v_dual_cndmask_b32 v3, v3, v11
	v_cmp_le_u32_e32 vcc_lo, s4, v10
	s_delay_alu instid0(VALU_DEP_2) | instskip(NEXT) | instid1(VALU_DEP_1)
	v_add_nc_u32_e32 v11, 1, v3
	v_dual_cndmask_b32 v10, v3, v11 :: v_dual_mov_b32 v11, v2
.LBB17_7:                               ;   in Loop: Header=BB17_3 Depth=1
	s_or_b32 exec_lo, exec_lo, s0
	v_add_nc_u64_e32 v[12:13], 32, v[8:9]
                                        ; implicit-def: $vgpr14_vgpr15
	s_mov_b32 s0, exec_lo
	s_delay_alu instid0(VALU_DEP_1) | instskip(NEXT) | instid1(VALU_DEP_1)
	v_mov_b32_e32 v3, v13
	v_cmpx_ne_u64_e32 0, v[2:3]
	s_xor_b32 s12, exec_lo, s0
	s_cbranch_execz .LBB17_9
; %bb.8:                                ;   in Loop: Header=BB17_3 Depth=1
	v_mul_u64_e32 v[14:15], s[14:15], v[4:5]
	v_dual_mov_b32 v19, v2 :: v_dual_mov_b32 v21, v2
	s_delay_alu instid0(VALU_DEP_2) | instskip(SKIP_1) | instid1(VALU_DEP_4)
	v_mul_hi_u32 v17, v4, v15
	v_mul_lo_u32 v16, v4, v15
	v_mul_hi_u32 v18, v4, v14
	v_mul_lo_u32 v3, v5, v14
	v_mul_hi_u32 v9, v5, v14
	v_mul_hi_u32 v20, v5, v15
	v_mul_lo_u32 v14, v5, v15
	v_add_nc_u64_e32 v[16:17], v[18:19], v[16:17]
	s_delay_alu instid0(VALU_DEP_1) | instskip(NEXT) | instid1(VALU_DEP_2)
	v_add_co_u32 v3, vcc_lo, v16, v3
	v_add_co_ci_u32_e32 v18, vcc_lo, v17, v9, vcc_lo
	v_add_co_ci_u32_e32 v15, vcc_lo, 0, v20, vcc_lo
	s_delay_alu instid0(VALU_DEP_1) | instskip(NEXT) | instid1(VALU_DEP_1)
	v_add_nc_u64_e32 v[14:15], v[18:19], v[14:15]
	v_add_co_u32 v14, vcc_lo, v4, v14
	s_delay_alu instid0(VALU_DEP_1) | instskip(NEXT) | instid1(VALU_DEP_1)
	v_add_co_ci_u32_e64 v15, null, v5, v15, vcc_lo
	v_mul_u64_e32 v[16:17], s[14:15], v[14:15]
	s_delay_alu instid0(VALU_DEP_1) | instskip(SKIP_1) | instid1(VALU_DEP_3)
	v_mul_hi_u32 v19, v14, v17
	v_mul_lo_u32 v18, v14, v17
	v_mul_hi_u32 v20, v14, v16
	v_mul_lo_u32 v3, v15, v16
	v_mul_hi_u32 v9, v15, v16
	v_mul_hi_u32 v26, v15, v17
	v_mul_lo_u32 v16, v15, v17
	v_add_nc_u64_e32 v[18:19], v[20:21], v[18:19]
	s_delay_alu instid0(VALU_DEP_1) | instskip(NEXT) | instid1(VALU_DEP_2)
	v_add_co_u32 v3, vcc_lo, v18, v3
	v_add_co_ci_u32_e32 v20, vcc_lo, v19, v9, vcc_lo
	v_add_co_ci_u32_e32 v17, vcc_lo, 0, v26, vcc_lo
	v_mov_b32_e32 v19, v2
	s_delay_alu instid0(VALU_DEP_2) | instskip(SKIP_1) | instid1(VALU_DEP_2)
	v_add_nc_u64_e32 v[16:17], v[20:21], v[16:17]
	v_mov_b32_e32 v20, v12
	v_add_co_u32 v14, vcc_lo, v14, v16
	s_delay_alu instid0(VALU_DEP_1) | instskip(SKIP_2) | instid1(VALU_DEP_3)
	v_add_co_ci_u32_e64 v18, null, v15, v17, vcc_lo
	v_dual_mov_b32 v16, v13 :: v_dual_mov_b32 v17, v2
	v_mov_b32_e32 v15, v2
	v_mul_u64_e32 v[20:21], v[20:21], v[18:19]
	s_delay_alu instid0(VALU_DEP_2) | instskip(SKIP_2) | instid1(VALU_DEP_1)
	v_mul_u64_e32 v[26:27], v[16:17], v[14:15]
	v_mul_u64_e32 v[16:17], v[16:17], v[18:19]
	v_mul_hi_u32 v14, v12, v14
	v_add_nc_u64_e32 v[14:15], v[14:15], v[20:21]
	s_delay_alu instid0(VALU_DEP_1) | instskip(NEXT) | instid1(VALU_DEP_2)
	v_add_co_u32 v3, vcc_lo, v14, v26
	v_add_co_ci_u32_e32 v18, vcc_lo, v15, v27, vcc_lo
	v_add_co_ci_u32_e32 v17, vcc_lo, 0, v17, vcc_lo
	s_delay_alu instid0(VALU_DEP_1) | instskip(NEXT) | instid1(VALU_DEP_1)
	v_add_nc_u64_e32 v[14:15], v[18:19], v[16:17]
	v_mul_u64_e32 v[16:17], s[4:5], v[14:15]
	s_delay_alu instid0(VALU_DEP_1) | instskip(NEXT) | instid1(VALU_DEP_1)
	v_sub_co_u32 v3, vcc_lo, v12, v16
	v_sub_co_ci_u32_e64 v9, null, v13, v17, vcc_lo
	s_delay_alu instid0(VALU_DEP_2) | instskip(NEXT) | instid1(VALU_DEP_1)
	v_sub_co_u32 v16, vcc_lo, v3, s4
	v_subrev_co_ci_u32_e64 v18, null, 0, v9, vcc_lo
	v_cmp_eq_u32_e64 s0, 0, v9
	s_delay_alu instid0(VALU_DEP_3) | instskip(SKIP_3) | instid1(VALU_DEP_2)
	v_cmp_le_u32_e32 vcc_lo, s4, v16
	v_add_nc_u64_e32 v[16:17], 2, v[14:15]
	v_cndmask_b32_e64 v19, 0, -1, vcc_lo
	v_cmp_eq_u32_e32 vcc_lo, 0, v18
	v_cndmask_b32_e32 v20, -1, v19, vcc_lo
	v_cmp_le_u32_e32 vcc_lo, s4, v3
	v_add_nc_u64_e32 v[18:19], 1, v[14:15]
	v_cndmask_b32_e64 v3, 0, -1, vcc_lo
	s_delay_alu instid0(VALU_DEP_4) | instskip(NEXT) | instid1(VALU_DEP_2)
	v_cmp_ne_u32_e32 vcc_lo, 0, v20
	v_dual_cndmask_b32 v3, -1, v3, s0 :: v_dual_cndmask_b32 v9, v19, v17, vcc_lo
	s_delay_alu instid0(VALU_DEP_4) | instskip(NEXT) | instid1(VALU_DEP_2)
	v_cndmask_b32_e32 v16, v18, v16, vcc_lo
	v_cmp_ne_u32_e32 vcc_lo, 0, v3
	s_delay_alu instid0(VALU_DEP_2)
	v_dual_cndmask_b32 v15, v15, v9 :: v_dual_cndmask_b32 v14, v14, v16
.LBB17_9:                               ;   in Loop: Header=BB17_3 Depth=1
	s_and_not1_saveexec_b32 s0, s12
	s_cbranch_execz .LBB17_11
; %bb.10:                               ;   in Loop: Header=BB17_3 Depth=1
	v_rcp_iflag_f32_e32 v3, v1
	v_nop
	s_delay_alu instid0(TRANS32_DEP_1) | instskip(NEXT) | instid1(VALU_DEP_1)
	v_mul_f32_e32 v3, 0x4f7ffffe, v3
	v_cvt_u32_f32_e32 v3, v3
	s_delay_alu instid0(VALU_DEP_1) | instskip(NEXT) | instid1(VALU_DEP_1)
	v_mul_lo_u32 v9, s24, v3
	v_mul_hi_u32 v9, v3, v9
	s_delay_alu instid0(VALU_DEP_1) | instskip(NEXT) | instid1(VALU_DEP_1)
	v_add_nc_u32_e32 v3, v3, v9
	v_mul_hi_u32 v3, v12, v3
	s_delay_alu instid0(VALU_DEP_1) | instskip(NEXT) | instid1(VALU_DEP_1)
	v_mul_lo_u32 v9, v3, s4
	v_dual_add_nc_u32 v14, 1, v3 :: v_dual_sub_nc_u32 v9, v12, v9
	s_delay_alu instid0(VALU_DEP_1) | instskip(SKIP_1) | instid1(VALU_DEP_2)
	v_subrev_nc_u32_e32 v15, s4, v9
	v_cmp_le_u32_e32 vcc_lo, s4, v9
	v_dual_cndmask_b32 v9, v9, v15, vcc_lo :: v_dual_mov_b32 v15, v2
	s_delay_alu instid0(VALU_DEP_4) | instskip(NEXT) | instid1(VALU_DEP_2)
	v_cndmask_b32_e32 v3, v3, v14, vcc_lo
	v_cmp_le_u32_e32 vcc_lo, s4, v9
	s_delay_alu instid0(VALU_DEP_2) | instskip(NEXT) | instid1(VALU_DEP_1)
	v_add_nc_u32_e32 v14, 1, v3
	v_cndmask_b32_e32 v14, v3, v14, vcc_lo
.LBB17_11:                              ;   in Loop: Header=BB17_3 Depth=1
	s_or_b32 exec_lo, exec_lo, s0
	s_ashr_i32 s17, s16, 31
	s_delay_alu instid0(SALU_CYCLE_1) | instskip(NEXT) | instid1(SALU_CYCLE_1)
	s_lshl_b64 s[18:19], s[16:17], 5
	s_and_b64 s[26:27], s[18:19], 0xffffffff00000000
	s_delay_alu instid0(SALU_CYCLE_1)
	s_cmp_lg_u64 s[26:27], 0
	s_cbranch_scc0 .LBB17_35
; %bb.12:                               ;   in Loop: Header=BB17_3 Depth=1
	v_mul_u64_e32 v[16:17], s[14:15], v[4:5]
	v_dual_mov_b32 v21, v2 :: v_dual_mov_b32 v27, v2
	s_delay_alu instid0(VALU_DEP_2) | instskip(SKIP_1) | instid1(VALU_DEP_4)
	v_mul_hi_u32 v19, v4, v17
	v_mul_lo_u32 v18, v4, v17
	v_mul_hi_u32 v20, v4, v16
	v_mul_lo_u32 v3, v5, v16
	v_mul_hi_u32 v9, v5, v16
	v_mul_hi_u32 v26, v5, v17
	v_mul_lo_u32 v16, v5, v17
	v_add_nc_u64_e32 v[18:19], v[20:21], v[18:19]
	s_delay_alu instid0(VALU_DEP_1) | instskip(NEXT) | instid1(VALU_DEP_2)
	v_add_co_u32 v3, vcc_lo, v18, v3
	v_add_co_ci_u32_e32 v20, vcc_lo, v19, v9, vcc_lo
	v_add_co_ci_u32_e32 v17, vcc_lo, 0, v26, vcc_lo
	s_delay_alu instid0(VALU_DEP_1) | instskip(NEXT) | instid1(VALU_DEP_1)
	v_add_nc_u64_e32 v[16:17], v[20:21], v[16:17]
	v_add_co_u32 v16, vcc_lo, v4, v16
	s_delay_alu instid0(VALU_DEP_1) | instskip(NEXT) | instid1(VALU_DEP_1)
	v_add_co_ci_u32_e64 v17, null, v5, v17, vcc_lo
	v_mul_u64_e32 v[18:19], s[14:15], v[16:17]
	s_delay_alu instid0(VALU_DEP_1) | instskip(SKIP_1) | instid1(VALU_DEP_3)
	v_mul_hi_u32 v21, v16, v19
	v_mul_lo_u32 v20, v16, v19
	v_mul_hi_u32 v26, v16, v18
	v_mul_lo_u32 v3, v17, v18
	v_mul_hi_u32 v9, v17, v18
	v_mul_hi_u32 v28, v17, v19
	v_mul_lo_u32 v18, v17, v19
	v_add_nc_u64_e32 v[20:21], v[26:27], v[20:21]
	s_delay_alu instid0(VALU_DEP_1) | instskip(NEXT) | instid1(VALU_DEP_2)
	v_add_co_u32 v3, vcc_lo, v20, v3
	v_add_co_ci_u32_e32 v26, vcc_lo, v21, v9, vcc_lo
	v_add_co_ci_u32_e32 v19, vcc_lo, 0, v28, vcc_lo
	s_delay_alu instid0(VALU_DEP_1) | instskip(NEXT) | instid1(VALU_DEP_1)
	v_add_nc_u64_e32 v[18:19], v[26:27], v[18:19]
	v_add_co_u32 v3, vcc_lo, v16, v18
	s_delay_alu instid0(VALU_DEP_1) | instskip(SKIP_1) | instid1(VALU_DEP_3)
	v_add_co_ci_u32_e64 v9, null, v17, v19, vcc_lo
	v_mov_b32_e32 v19, v2
	v_mul_hi_u32 v18, s18, v3
	v_mul_lo_u32 v21, s19, v3
	s_delay_alu instid0(VALU_DEP_4) | instskip(SKIP_4) | instid1(VALU_DEP_4)
	v_mul_hi_u32 v17, s18, v9
	v_mul_lo_u32 v16, s18, v9
	v_mul_hi_u32 v3, s19, v3
	v_mul_hi_u32 v26, s19, v9
	v_mul_lo_u32 v20, s19, v9
	v_add_nc_u64_e32 v[16:17], v[18:19], v[16:17]
	s_delay_alu instid0(VALU_DEP_1) | instskip(NEXT) | instid1(VALU_DEP_2)
	v_add_co_u32 v9, vcc_lo, v16, v21
	v_add_co_ci_u32_e32 v18, vcc_lo, v17, v3, vcc_lo
	v_add_co_ci_u32_e32 v21, vcc_lo, 0, v26, vcc_lo
	s_delay_alu instid0(VALU_DEP_1) | instskip(NEXT) | instid1(VALU_DEP_1)
	v_add_nc_u64_e32 v[16:17], v[18:19], v[20:21]
	v_mul_u64_e32 v[18:19], s[4:5], v[16:17]
	s_delay_alu instid0(VALU_DEP_1) | instskip(NEXT) | instid1(VALU_DEP_1)
	v_sub_co_u32 v3, vcc_lo, s18, v18
	v_sub_co_ci_u32_e64 v9, null, s19, v19, vcc_lo
	s_delay_alu instid0(VALU_DEP_2) | instskip(NEXT) | instid1(VALU_DEP_1)
	v_sub_co_u32 v18, vcc_lo, v3, s4
	v_subrev_co_ci_u32_e64 v20, null, 0, v9, vcc_lo
	v_cmp_eq_u32_e64 s0, 0, v9
	s_delay_alu instid0(VALU_DEP_3) | instskip(SKIP_3) | instid1(VALU_DEP_2)
	v_cmp_le_u32_e32 vcc_lo, s4, v18
	v_add_nc_u64_e32 v[18:19], 1, v[16:17]
	v_cndmask_b32_e64 v21, 0, -1, vcc_lo
	v_cmp_eq_u32_e32 vcc_lo, 0, v20
	v_cndmask_b32_e32 v26, -1, v21, vcc_lo
	v_cmp_le_u32_e32 vcc_lo, s4, v3
	v_add_nc_u64_e32 v[20:21], 2, v[16:17]
	v_cndmask_b32_e64 v3, 0, -1, vcc_lo
	s_delay_alu instid0(VALU_DEP_4) | instskip(NEXT) | instid1(VALU_DEP_2)
	v_cmp_ne_u32_e32 vcc_lo, 0, v26
	v_dual_cndmask_b32 v3, -1, v3, s0 :: v_dual_cndmask_b32 v9, v18, v20, vcc_lo
	s_delay_alu instid0(VALU_DEP_4) | instskip(NEXT) | instid1(VALU_DEP_2)
	v_cndmask_b32_e32 v18, v19, v21, vcc_lo
	v_cmp_ne_u32_e32 vcc_lo, 0, v3
	s_delay_alu instid0(VALU_DEP_2)
	v_dual_cndmask_b32 v17, v17, v18 :: v_dual_cndmask_b32 v16, v16, v9
	s_cbranch_execnz .LBB17_14
.LBB17_13:                              ;   in Loop: Header=BB17_3 Depth=1
	v_rcp_iflag_f32_e32 v3, v1
	v_nop
	s_delay_alu instid0(TRANS32_DEP_1) | instskip(NEXT) | instid1(VALU_DEP_1)
	v_mul_f32_e32 v3, 0x4f7ffffe, v3
	v_cvt_u32_f32_e32 v3, v3
	s_delay_alu instid0(VALU_DEP_1) | instskip(SKIP_1) | instid1(SALU_CYCLE_1)
	v_readfirstlane_b32 s0, v3
	s_mul_i32 s12, s24, s0
	s_mul_hi_u32 s12, s0, s12
	s_delay_alu instid0(SALU_CYCLE_1) | instskip(NEXT) | instid1(SALU_CYCLE_1)
	s_add_co_i32 s0, s0, s12
	s_mul_hi_u32 s0, s18, s0
	s_delay_alu instid0(SALU_CYCLE_1) | instskip(SKIP_2) | instid1(SALU_CYCLE_1)
	s_mul_i32 s12, s0, s4
	s_add_co_i32 s17, s0, 1
	s_sub_co_i32 s12, s18, s12
	s_sub_co_i32 s18, s12, s4
	s_cmp_ge_u32 s12, s4
	s_cselect_b32 s0, s17, s0
	s_cselect_b32 s12, s18, s12
	s_add_co_i32 s17, s0, 1
	s_cmp_ge_u32 s12, s4
	s_cselect_b32 s12, s17, s0
	s_delay_alu instid0(SALU_CYCLE_1)
	v_mov_b64_e32 v[16:17], s[12:13]
.LBB17_14:                              ;   in Loop: Header=BB17_3 Depth=1
	s_addk_co_i32 s16, 0x100
	s_delay_alu instid0(SALU_CYCLE_1) | instskip(NEXT) | instid1(SALU_CYCLE_1)
	s_ashr_i32 s17, s16, 31
	s_lshl_b64 s[16:17], s[16:17], 5
	s_delay_alu instid0(SALU_CYCLE_1) | instskip(NEXT) | instid1(SALU_CYCLE_1)
	s_and_b64 s[18:19], s[16:17], 0xffffffff00000000
	s_cmp_lg_u64 s[18:19], 0
	s_cbranch_scc0 .LBB17_36
; %bb.15:                               ;   in Loop: Header=BB17_3 Depth=1
	v_mul_u64_e32 v[18:19], s[14:15], v[4:5]
	v_dual_mov_b32 v27, v2 :: v_dual_mov_b32 v29, v2
	s_delay_alu instid0(VALU_DEP_2) | instskip(SKIP_1) | instid1(VALU_DEP_4)
	v_mul_hi_u32 v21, v4, v19
	v_mul_lo_u32 v20, v4, v19
	v_mul_hi_u32 v26, v4, v18
	v_mul_lo_u32 v3, v5, v18
	v_mul_hi_u32 v9, v5, v18
	v_mul_hi_u32 v28, v5, v19
	v_mul_lo_u32 v18, v5, v19
	v_add_nc_u64_e32 v[20:21], v[26:27], v[20:21]
	s_delay_alu instid0(VALU_DEP_1) | instskip(NEXT) | instid1(VALU_DEP_2)
	v_add_co_u32 v3, vcc_lo, v20, v3
	v_add_co_ci_u32_e32 v26, vcc_lo, v21, v9, vcc_lo
	v_add_co_ci_u32_e32 v19, vcc_lo, 0, v28, vcc_lo
	s_delay_alu instid0(VALU_DEP_1) | instskip(NEXT) | instid1(VALU_DEP_1)
	v_add_nc_u64_e32 v[18:19], v[26:27], v[18:19]
	v_add_co_u32 v18, vcc_lo, v4, v18
	s_delay_alu instid0(VALU_DEP_1) | instskip(NEXT) | instid1(VALU_DEP_1)
	v_add_co_ci_u32_e64 v19, null, v5, v19, vcc_lo
	v_mul_u64_e32 v[20:21], s[14:15], v[18:19]
	s_delay_alu instid0(VALU_DEP_1) | instskip(SKIP_1) | instid1(VALU_DEP_3)
	v_mul_hi_u32 v27, v18, v21
	v_mul_lo_u32 v26, v18, v21
	v_mul_hi_u32 v28, v18, v20
	v_mul_lo_u32 v3, v19, v20
	v_mul_hi_u32 v9, v19, v20
	v_mul_hi_u32 v30, v19, v21
	v_mul_lo_u32 v20, v19, v21
	v_add_nc_u64_e32 v[26:27], v[28:29], v[26:27]
	s_delay_alu instid0(VALU_DEP_1) | instskip(NEXT) | instid1(VALU_DEP_2)
	v_add_co_u32 v3, vcc_lo, v26, v3
	v_add_co_ci_u32_e32 v28, vcc_lo, v27, v9, vcc_lo
	v_add_co_ci_u32_e32 v21, vcc_lo, 0, v30, vcc_lo
	s_delay_alu instid0(VALU_DEP_1) | instskip(NEXT) | instid1(VALU_DEP_1)
	v_add_nc_u64_e32 v[20:21], v[28:29], v[20:21]
	v_add_co_u32 v3, vcc_lo, v18, v20
	s_delay_alu instid0(VALU_DEP_1) | instskip(SKIP_1) | instid1(VALU_DEP_3)
	v_add_co_ci_u32_e64 v9, null, v19, v21, vcc_lo
	v_mov_b32_e32 v21, v2
	v_mul_hi_u32 v20, s16, v3
	v_mul_lo_u32 v27, s17, v3
	s_delay_alu instid0(VALU_DEP_4) | instskip(SKIP_4) | instid1(VALU_DEP_4)
	v_mul_hi_u32 v19, s16, v9
	v_mul_lo_u32 v18, s16, v9
	v_mul_hi_u32 v3, s17, v3
	v_mul_hi_u32 v28, s17, v9
	v_mul_lo_u32 v26, s17, v9
	v_add_nc_u64_e32 v[18:19], v[20:21], v[18:19]
	s_delay_alu instid0(VALU_DEP_1) | instskip(NEXT) | instid1(VALU_DEP_2)
	v_add_co_u32 v9, vcc_lo, v18, v27
	v_add_co_ci_u32_e32 v20, vcc_lo, v19, v3, vcc_lo
	v_add_co_ci_u32_e32 v27, vcc_lo, 0, v28, vcc_lo
	s_delay_alu instid0(VALU_DEP_1) | instskip(NEXT) | instid1(VALU_DEP_1)
	v_add_nc_u64_e32 v[18:19], v[20:21], v[26:27]
	v_mul_u64_e32 v[20:21], s[4:5], v[18:19]
	s_delay_alu instid0(VALU_DEP_1) | instskip(NEXT) | instid1(VALU_DEP_1)
	v_sub_co_u32 v3, vcc_lo, s16, v20
	v_sub_co_ci_u32_e64 v9, null, s17, v21, vcc_lo
	s_delay_alu instid0(VALU_DEP_2) | instskip(NEXT) | instid1(VALU_DEP_1)
	v_sub_co_u32 v20, vcc_lo, v3, s4
	v_subrev_co_ci_u32_e64 v26, null, 0, v9, vcc_lo
	v_cmp_eq_u32_e64 s0, 0, v9
	s_delay_alu instid0(VALU_DEP_3) | instskip(SKIP_3) | instid1(VALU_DEP_2)
	v_cmp_le_u32_e32 vcc_lo, s4, v20
	v_add_nc_u64_e32 v[20:21], 1, v[18:19]
	v_cndmask_b32_e64 v27, 0, -1, vcc_lo
	v_cmp_eq_u32_e32 vcc_lo, 0, v26
	v_cndmask_b32_e32 v28, -1, v27, vcc_lo
	v_cmp_le_u32_e32 vcc_lo, s4, v3
	v_add_nc_u64_e32 v[26:27], 2, v[18:19]
	v_cndmask_b32_e64 v3, 0, -1, vcc_lo
	s_delay_alu instid0(VALU_DEP_4) | instskip(NEXT) | instid1(VALU_DEP_2)
	v_cmp_ne_u32_e32 vcc_lo, 0, v28
	v_dual_cndmask_b32 v3, -1, v3, s0 :: v_dual_cndmask_b32 v9, v20, v26, vcc_lo
	s_delay_alu instid0(VALU_DEP_4) | instskip(NEXT) | instid1(VALU_DEP_2)
	v_cndmask_b32_e32 v20, v21, v27, vcc_lo
	v_cmp_ne_u32_e32 vcc_lo, 0, v3
	s_delay_alu instid0(VALU_DEP_2)
	v_dual_cndmask_b32 v18, v18, v9 :: v_dual_cndmask_b32 v19, v19, v20
	s_cbranch_execnz .LBB17_17
.LBB17_16:                              ;   in Loop: Header=BB17_3 Depth=1
	v_rcp_iflag_f32_e32 v1, v1
	v_nop
	s_delay_alu instid0(TRANS32_DEP_1) | instskip(NEXT) | instid1(VALU_DEP_1)
	v_mul_f32_e32 v1, 0x4f7ffffe, v1
	v_cvt_u32_f32_e32 v1, v1
	s_delay_alu instid0(VALU_DEP_1) | instskip(SKIP_1) | instid1(SALU_CYCLE_1)
	v_readfirstlane_b32 s0, v1
	s_mul_i32 s12, s24, s0
	s_mul_hi_u32 s12, s0, s12
	s_delay_alu instid0(SALU_CYCLE_1) | instskip(NEXT) | instid1(SALU_CYCLE_1)
	s_add_co_i32 s0, s0, s12
	s_mul_hi_u32 s0, s16, s0
	s_delay_alu instid0(SALU_CYCLE_1) | instskip(SKIP_2) | instid1(SALU_CYCLE_1)
	s_mul_i32 s12, s0, s4
	s_add_co_i32 s18, s0, 1
	s_sub_co_i32 s12, s16, s12
	s_sub_co_i32 s19, s12, s4
	s_cmp_ge_u32 s12, s4
	s_cselect_b32 s0, s18, s0
	s_cselect_b32 s12, s19, s12
	s_add_co_i32 s18, s0, 1
	s_cmp_ge_u32 s12, s4
	s_cselect_b32 s12, s18, s0
	s_delay_alu instid0(SALU_CYCLE_1)
	v_mov_b64_e32 v[18:19], s[12:13]
.LBB17_17:                              ;   in Loop: Header=BB17_3 Depth=1
	s_delay_alu instid0(VALU_DEP_1)
	v_mul_u64_e32 v[20:21], s[4:5], v[18:19]
	v_mov_b32_e32 v27, s13
	v_and_b32_e32 v16, 0xffffff00, v16
	v_min_u64 v[10:11], s[6:7], v[10:11]
	v_mov_b32_e32 v3, 0
	v_sub_nc_u64_e32 v[20:21], s[16:17], v[20:21]
	s_delay_alu instid0(VALU_DEP_1) | instskip(SKIP_2) | instid1(VALU_DEP_1)
	v_cmp_ne_u64_e32 vcc_lo, 0, v[20:21]
	v_mov_b32_e32 v21, v2
	v_cndmask_b32_e64 v26, 0, 1, vcc_lo
	v_add_nc_u64_e32 v[18:19], v[18:19], v[26:27]
	s_delay_alu instid0(VALU_DEP_1) | instskip(NEXT) | instid1(VALU_DEP_1)
	v_and_b32_e32 v20, 0xff, v18
	v_cmp_eq_u64_e32 vcc_lo, 0, v[20:21]
	v_cndmask_b32_e64 v20, 0x100, 0, vcc_lo
	s_delay_alu instid0(VALU_DEP_1) | instskip(SKIP_1) | instid1(VALU_DEP_2)
	v_add_nc_u64_e32 v[20:21], v[20:21], v[18:19]
	v_min_u64 v[18:19], s[6:7], v[16:17]
	v_and_b32_e32 v20, 0xffffff00, v20
	s_delay_alu instid0(VALU_DEP_1) | instskip(NEXT) | instid1(VALU_DEP_1)
	v_min_u64 v[16:17], s[6:7], v[20:21]
	v_cmp_ge_i32_e32 vcc_lo, v18, v16
	s_cbranch_vccnz .LBB17_33
; %bb.18:                               ;   in Loop: Header=BB17_3 Depth=1
	v_mul_u64_e32 v[20:21], s[4:5], v[14:15]
	v_dual_mov_b32 v3, 0 :: v_dual_mov_b32 v1, v8
	s_delay_alu instid0(VALU_DEP_2) | instskip(NEXT) | instid1(VALU_DEP_1)
	v_sub_nc_u64_e32 v[12:13], v[12:13], v[20:21]
	v_cmp_ne_u64_e32 vcc_lo, 0, v[12:13]
	v_mov_b32_e32 v13, s13
	v_cndmask_b32_e64 v12, 0, 1, vcc_lo
	s_delay_alu instid0(VALU_DEP_1) | instskip(NEXT) | instid1(VALU_DEP_1)
	v_add_nc_u64_e32 v[12:13], v[14:15], v[12:13]
	v_min_u64 v[12:13], s[6:7], v[12:13]
.LBB17_19:                              ;   Parent Loop BB17_3 Depth=1
                                        ; =>  This Loop Header: Depth=2
                                        ;       Child Loop BB17_24 Depth 3
                                        ;       Child Loop BB17_28 Depth 3
	s_delay_alu instid0(VALU_DEP_1) | instskip(SKIP_3) | instid1(VALU_DEP_1)
	v_add_nc_u32_e32 v14, v18, v0
	s_mov_b32 s0, exec_lo
	s_barrier_signal -1
	s_barrier_wait -1
	v_ashrrev_i32_e32 v15, 31, v14
	s_delay_alu instid0(VALU_DEP_1)
	v_cmpx_gt_u64_e64 s[2:3], v[14:15]
	s_cbranch_execz .LBB17_21
; %bb.20:                               ;   in Loop: Header=BB17_19 Depth=2
	v_lshl_add_u64 v[14:15], v[14:15], 2, s[10:11]
	global_load_b32 v9, v[14:15], off
	s_wait_loadcnt 0x0
	s_wait_kmcnt 0x0
	v_subrev_nc_u32_e32 v9, s22, v9
	ds_store_b32 v23, v9
.LBB17_21:                              ;   in Loop: Header=BB17_19 Depth=2
	s_wait_xcnt 0x0
	s_or_b32 exec_lo, exec_lo, s0
	v_add_nc_u32_e32 v9, 0x100, v18
	v_max_i32_e32 v14, v10, v18
	s_wait_dscnt 0x0
	s_barrier_signal -1
	s_barrier_wait -1
	v_min_i32_e32 v11, v12, v9
	s_mov_b32 s0, exec_lo
	s_delay_alu instid0(VALU_DEP_1)
	v_cmpx_gt_i32_e64 v11, v14
	s_xor_b32 s12, exec_lo, s0
	s_cbranch_execz .LBB17_31
; %bb.22:                               ;   in Loop: Header=BB17_19 Depth=2
	v_sub_nc_u32_e32 v13, v11, v14
	s_mov_b32 s17, -1
	s_mov_b32 s16, exec_lo
	s_delay_alu instid0(VALU_DEP_1)
	v_cmpx_lt_u32_e32 1, v13
	s_cbranch_execz .LBB17_26
; %bb.23:                               ;   in Loop: Header=BB17_19 Depth=2
	v_dual_add_nc_u32 v15, 1, v14 :: v_dual_bitop2_b32 v17, -2, v13 bitop3:0x40
	v_mov_b32_e32 v19, 0
	s_mov_b32 s17, 0
	s_mov_b32 s18, 0
	s_delay_alu instid0(VALU_DEP_2)
	v_mov_b32_e32 v26, v17
	v_mov_b64_e32 v[20:21], v[14:15]
.LBB17_24:                              ;   Parent Loop BB17_3 Depth=1
                                        ;     Parent Loop BB17_19 Depth=2
                                        ; =>    This Inner Loop Header: Depth=3
	s_delay_alu instid0(VALU_DEP_1) | instskip(SKIP_1) | instid1(VALU_DEP_3)
	v_mul_lo_u32 v27, v20, v25
	v_add_nc_u32_e32 v15, s18, v14
	v_mul_lo_u32 v30, v21, v25
	v_dual_add_nc_u32 v21, 2, v21 :: v_dual_add_nc_u32 v20, 2, v20
	s_add_co_i32 s18, s18, 2
	s_delay_alu instid0(VALU_DEP_4) | instskip(NEXT) | instid1(VALU_DEP_1)
	v_dual_add_nc_u32 v26, -2, v26 :: v_dual_sub_nc_u32 v27, v27, v8
	v_dual_sub_nc_u32 v15, v15, v18 :: v_dual_sub_nc_u32 v31, 0, v27
	s_delay_alu instid0(VALU_DEP_1) | instskip(SKIP_4) | instid1(VALU_DEP_1)
	v_lshlrev_b32_e32 v15, 2, v15
	v_cmp_lt_i32_e32 vcc_lo, 0, v27
	ds_load_2addr_b32 v[28:29], v15 offset1:1
	s_wait_dscnt 0x0
	v_dual_sub_nc_u32 v15, v30, v1 :: v_dual_lshlrev_b32 v32, v27, v28
	v_dual_lshrrev_b32 v28, v31, v28 :: v_dual_sub_nc_u32 v30, 0, v15
	v_lshlrev_b32_e32 v33, v15, v29
	v_cmp_lt_i32_e64 s0, 0, v15
	s_delay_alu instid0(VALU_DEP_3) | instskip(SKIP_1) | instid1(VALU_DEP_2)
	v_dual_cndmask_b32 v27, v28, v32, vcc_lo :: v_dual_lshrrev_b32 v29, v30, v29
	v_cmp_eq_u32_e32 vcc_lo, 0, v26
	v_dual_cndmask_b32 v15, v29, v33, s0 :: v_dual_bitop2_b32 v3, v27, v3 bitop3:0x54
	s_or_b32 s17, vcc_lo, s17
	s_delay_alu instid0(VALU_DEP_1)
	v_or_b32_e32 v19, v15, v19
	s_and_not1_b32 exec_lo, exec_lo, s17
	s_cbranch_execnz .LBB17_24
; %bb.25:                               ;   in Loop: Header=BB17_19 Depth=2
	s_or_b32 exec_lo, exec_lo, s17
	v_cmp_ne_u32_e32 vcc_lo, v13, v17
	v_dual_add_nc_u32 v14, v14, v17 :: v_dual_bitop2_b32 v3, v3, v19 bitop3:0x54
	s_or_not1_b32 s17, vcc_lo, exec_lo
.LBB17_26:                              ;   in Loop: Header=BB17_19 Depth=2
	s_or_b32 exec_lo, exec_lo, s16
	s_and_saveexec_b32 s0, s17
	s_cbranch_execz .LBB17_30
; %bb.27:                               ;   in Loop: Header=BB17_19 Depth=2
	v_mul_lo_u32 v15, v25, v14
	s_mov_b32 s16, 0
	s_delay_alu instid0(VALU_DEP_1)
	v_dual_add_nc_u32 v13, v24, v15 :: v_dual_sub_nc_u32 v15, v22, v15
.LBB17_28:                              ;   Parent Loop BB17_3 Depth=1
                                        ;     Parent Loop BB17_19 Depth=2
                                        ; =>    This Inner Loop Header: Depth=3
	v_sub_nc_u32_e32 v17, v14, v18
	s_delay_alu instid0(VALU_DEP_2) | instskip(NEXT) | instid1(VALU_DEP_2)
	v_cmp_lt_i32_e32 vcc_lo, 0, v13
	v_dual_add_nc_u32 v14, 1, v14 :: v_dual_lshlrev_b32 v17, 2, v17
	ds_load_b32 v17, v17
	s_wait_dscnt 0x0
	v_dual_lshlrev_b32 v19, v13, v17 :: v_dual_lshrrev_b32 v17, v15, v17
	v_dual_add_nc_u32 v13, v13, v25 :: v_dual_sub_nc_u32 v15, v15, v25
	s_delay_alu instid0(VALU_DEP_2) | instskip(SKIP_1) | instid1(VALU_DEP_2)
	v_cndmask_b32_e32 v17, v17, v19, vcc_lo
	v_cmp_ge_i32_e32 vcc_lo, v14, v11
	v_or_b32_e32 v3, v17, v3
	s_or_b32 s16, vcc_lo, s16
	s_delay_alu instid0(SALU_CYCLE_1)
	s_and_not1_b32 exec_lo, exec_lo, s16
	s_cbranch_execnz .LBB17_28
; %bb.29:                               ;   in Loop: Header=BB17_19 Depth=2
	s_or_b32 exec_lo, exec_lo, s16
.LBB17_30:                              ;   in Loop: Header=BB17_19 Depth=2
	s_delay_alu instid0(SALU_CYCLE_1)
	s_or_b32 exec_lo, exec_lo, s0
.LBB17_31:                              ;   in Loop: Header=BB17_19 Depth=2
	s_delay_alu instid0(SALU_CYCLE_1)
	s_or_b32 exec_lo, exec_lo, s12
	v_cmp_lt_i32_e32 vcc_lo, v9, v16
	s_cbranch_vccz .LBB17_33
; %bb.32:                               ;   in Loop: Header=BB17_19 Depth=2
	v_mov_b32_e32 v18, v9
	s_branch .LBB17_19
.LBB17_33:                              ;   in Loop: Header=BB17_3 Depth=1
	v_ashrrev_i32_e32 v11, 31, v10
	s_mov_b32 s0, exec_lo
	s_delay_alu instid0(VALU_DEP_1)
	v_cmpx_gt_u64_e64 s[2:3], v[10:11]
	s_cbranch_execz .LBB17_2
; %bb.34:                               ;   in Loop: Header=BB17_3 Depth=1
	v_lshl_add_u64 v[6:7], v[6:7], 2, s[8:9]
	global_store_b32 v[6:7], v3, off
	s_branch .LBB17_2
.LBB17_35:                              ;   in Loop: Header=BB17_3 Depth=1
                                        ; implicit-def: $vgpr16_vgpr17
	s_branch .LBB17_13
.LBB17_36:                              ;   in Loop: Header=BB17_3 Depth=1
                                        ; implicit-def: $vgpr18_vgpr19
	s_branch .LBB17_16
.LBB17_37:
	s_endpgm
	.section	.rodata,"a",@progbits
	.p2align	6, 0x0
	.amdhsa_kernel _Z13bitPackKernelIjjEvPKhPKT_PT0_S4_PKm
		.amdhsa_group_segment_fixed_size 1024
		.amdhsa_private_segment_fixed_size 0
		.amdhsa_kernarg_size 296
		.amdhsa_user_sgpr_count 2
		.amdhsa_user_sgpr_dispatch_ptr 0
		.amdhsa_user_sgpr_queue_ptr 0
		.amdhsa_user_sgpr_kernarg_segment_ptr 1
		.amdhsa_user_sgpr_dispatch_id 0
		.amdhsa_user_sgpr_kernarg_preload_length 0
		.amdhsa_user_sgpr_kernarg_preload_offset 0
		.amdhsa_user_sgpr_private_segment_size 0
		.amdhsa_wavefront_size32 1
		.amdhsa_uses_dynamic_stack 0
		.amdhsa_enable_private_segment 0
		.amdhsa_system_sgpr_workgroup_id_x 1
		.amdhsa_system_sgpr_workgroup_id_y 0
		.amdhsa_system_sgpr_workgroup_id_z 0
		.amdhsa_system_sgpr_workgroup_info 0
		.amdhsa_system_vgpr_workitem_id 0
		.amdhsa_next_free_vgpr 34
		.amdhsa_next_free_sgpr 28
		.amdhsa_named_barrier_count 0
		.amdhsa_reserve_vcc 1
		.amdhsa_float_round_mode_32 0
		.amdhsa_float_round_mode_16_64 0
		.amdhsa_float_denorm_mode_32 3
		.amdhsa_float_denorm_mode_16_64 3
		.amdhsa_fp16_overflow 0
		.amdhsa_memory_ordered 1
		.amdhsa_forward_progress 1
		.amdhsa_inst_pref_size 29
		.amdhsa_round_robin_scheduling 0
		.amdhsa_exception_fp_ieee_invalid_op 0
		.amdhsa_exception_fp_denorm_src 0
		.amdhsa_exception_fp_ieee_div_zero 0
		.amdhsa_exception_fp_ieee_overflow 0
		.amdhsa_exception_fp_ieee_underflow 0
		.amdhsa_exception_fp_ieee_inexact 0
		.amdhsa_exception_int_div_zero 0
	.end_amdhsa_kernel
	.section	.text._Z13bitPackKernelIjjEvPKhPKT_PT0_S4_PKm,"axG",@progbits,_Z13bitPackKernelIjjEvPKhPKT_PT0_S4_PKm,comdat
.Lfunc_end17:
	.size	_Z13bitPackKernelIjjEvPKhPKT_PT0_S4_PKm, .Lfunc_end17-_Z13bitPackKernelIjjEvPKhPKT_PT0_S4_PKm
                                        ; -- End function
	.set _Z13bitPackKernelIjjEvPKhPKT_PT0_S4_PKm.num_vgpr, 34
	.set _Z13bitPackKernelIjjEvPKhPKT_PT0_S4_PKm.num_agpr, 0
	.set _Z13bitPackKernelIjjEvPKhPKT_PT0_S4_PKm.numbered_sgpr, 28
	.set _Z13bitPackKernelIjjEvPKhPKT_PT0_S4_PKm.num_named_barrier, 0
	.set _Z13bitPackKernelIjjEvPKhPKT_PT0_S4_PKm.private_seg_size, 0
	.set _Z13bitPackKernelIjjEvPKhPKT_PT0_S4_PKm.uses_vcc, 1
	.set _Z13bitPackKernelIjjEvPKhPKT_PT0_S4_PKm.uses_flat_scratch, 0
	.set _Z13bitPackKernelIjjEvPKhPKT_PT0_S4_PKm.has_dyn_sized_stack, 0
	.set _Z13bitPackKernelIjjEvPKhPKT_PT0_S4_PKm.has_recursion, 0
	.set _Z13bitPackKernelIjjEvPKhPKT_PT0_S4_PKm.has_indirect_call, 0
	.section	.AMDGPU.csdata,"",@progbits
; Kernel info:
; codeLenInByte = 3700
; TotalNumSgprs: 30
; NumVgprs: 34
; ScratchSize: 0
; MemoryBound: 0
; FloatMode: 240
; IeeeMode: 1
; LDSByteSize: 1024 bytes/workgroup (compile time only)
; SGPRBlocks: 0
; VGPRBlocks: 2
; NumSGPRsForWavesPerEU: 30
; NumVGPRsForWavesPerEU: 34
; NamedBarCnt: 0
; Occupancy: 16
; WaveLimiterHint : 0
; COMPUTE_PGM_RSRC2:SCRATCH_EN: 0
; COMPUTE_PGM_RSRC2:USER_SGPR: 2
; COMPUTE_PGM_RSRC2:TRAP_HANDLER: 0
; COMPUTE_PGM_RSRC2:TGID_X_EN: 1
; COMPUTE_PGM_RSRC2:TGID_Y_EN: 0
; COMPUTE_PGM_RSRC2:TGID_Z_EN: 0
; COMPUTE_PGM_RSRC2:TIDIG_COMP_CNT: 0
	.section	.text._Z23bitPackConfigScanKernelIxxEvPT_S1_PKT0_PKm,"axG",@progbits,_Z23bitPackConfigScanKernelIxxEvPT_S1_PKT0_PKm,comdat
	.protected	_Z23bitPackConfigScanKernelIxxEvPT_S1_PKT0_PKm ; -- Begin function _Z23bitPackConfigScanKernelIxxEvPT_S1_PKT0_PKm
	.globl	_Z23bitPackConfigScanKernelIxxEvPT_S1_PKT0_PKm
	.p2align	8
	.type	_Z23bitPackConfigScanKernelIxxEvPT_S1_PKT0_PKm,@function
_Z23bitPackConfigScanKernelIxxEvPT_S1_PKT0_PKm: ; @_Z23bitPackConfigScanKernelIxxEvPT_S1_PKT0_PKm
; %bb.0:
	s_load_b256 s[4:11], s[0:1], 0x0
	s_wait_kmcnt 0x0
	s_load_b64 s[2:3], s[10:11], 0x0
	s_wait_kmcnt 0x0
	s_and_b64 s[10:11], s[2:3], 0xff
	s_lshr_b64 s[12:13], s[2:3], 8
	s_cmp_lg_u64 s[10:11], 0
	s_cselect_b32 s3, -1, 0
	s_delay_alu instid0(SALU_CYCLE_1)
	s_cmp_lg_u32 s3, 0
	s_add_co_ci_u32 s10, s12, 0
	s_bfe_u32 s3, ttmp6, 0x4000c
	s_and_b32 s11, ttmp6, 15
	s_add_co_i32 s3, s3, 1
	s_getreg_b32 s12, hwreg(HW_REG_IB_STS2, 6, 4)
	s_mul_i32 s3, ttmp9, s3
	s_delay_alu instid0(SALU_CYCLE_1) | instskip(SKIP_2) | instid1(SALU_CYCLE_1)
	s_add_co_i32 s11, s11, s3
	s_cmp_eq_u32 s12, 0
	s_cselect_b32 s3, ttmp9, s11
	s_cmp_ge_u32 s3, s10
	s_cbranch_scc1 .LBB18_82
; %bb.1:
	s_cmp_lt_i32 s3, s10
	s_cbranch_scc1 .LBB18_83
; %bb.2:
	s_cbranch_execz .LBB18_84
; %bb.3:
	v_mov_b64_e32 v[2:3], 0
	v_mov_b64_e32 v[4:5], 0
	s_mov_b32 s1, 0
.LBB18_4:
	v_lshlrev_b32_e32 v6, 3, v0
	v_cmp_lt_u32_e32 vcc_lo, 0x7f, v0
	s_delay_alu instid0(VALU_DEP_2)
	v_add_nc_u32_e32 v1, 0xfffffc00, v6
	ds_store_2addr_stride64_b64 v6, v[4:5], v[2:3] offset1:4
	s_wait_dscnt 0x0
	s_barrier_signal -1
	s_barrier_wait -1
	s_and_saveexec_b32 s0, vcc_lo
	s_delay_alu instid0(SALU_CYCLE_1)
	s_xor_b32 s2, exec_lo, s0
	s_cbranch_execz .LBB18_8
; %bb.5:
	s_mov_b32 s8, exec_lo
	v_cmpx_gt_i32_e64 s1, v0
	s_cbranch_execz .LBB18_7
; %bb.6:
	ds_load_b64 v[2:3], v1
	ds_load_b64 v[4:5], v6
	s_wait_dscnt 0x0
	v_max_i64 v[2:3], v[2:3], v[4:5]
	ds_store_b64 v1, v[2:3]
.LBB18_7:
	s_or_b32 exec_lo, exec_lo, s8
.LBB18_8:
	s_or_saveexec_b32 s2, s2
	v_add_nc_u32_e32 v2, 0x800, v6
	s_xor_b32 exec_lo, exec_lo, s2
	s_cbranch_execz .LBB18_12
; %bb.9:
	v_or_b32_e32 v3, 0x80, v0
	s_mov_b32 s8, exec_lo
	s_delay_alu instid0(VALU_DEP_1)
	v_cmpx_gt_i32_e64 s1, v3
	s_cbranch_execz .LBB18_11
; %bb.10:
	ds_load_2addr_stride64_b64 v[8:11], v2 offset1:2
	s_wait_dscnt 0x0
	v_min_i64 v[4:5], v[8:9], v[10:11]
	ds_store_b64 v2, v[4:5]
.LBB18_11:
	s_or_b32 exec_lo, exec_lo, s8
.LBB18_12:
	s_delay_alu instid0(SALU_CYCLE_1) | instskip(SKIP_4) | instid1(SALU_CYCLE_1)
	s_or_b32 exec_lo, exec_lo, s2
	s_wait_dscnt 0x0
	s_barrier_signal -1
	s_barrier_wait -1
	s_and_saveexec_b32 s0, vcc_lo
	s_xor_b32 s2, exec_lo, s0
	s_cbranch_execz .LBB18_17
; %bb.13:
	s_mov_b32 s8, exec_lo
	v_cmpx_gt_u32_e32 0xc0, v0
	s_cbranch_execz .LBB18_16
; %bb.14:
	v_subrev_nc_u32_e32 v3, 64, v0
	s_delay_alu instid0(VALU_DEP_1)
	v_cmp_gt_i32_e64 s0, s1, v3
	s_and_b32 exec_lo, exec_lo, s0
	s_cbranch_execz .LBB18_16
; %bb.15:
	v_add_nc_u32_e32 v3, 0xfffffe00, v6
	ds_load_b64 v[4:5], v1
	ds_load_b64 v[8:9], v3
	s_wait_dscnt 0x0
	v_max_i64 v[4:5], v[4:5], v[8:9]
	ds_store_b64 v1, v[4:5]
.LBB18_16:
	s_or_b32 exec_lo, exec_lo, s8
.LBB18_17:
	s_and_not1_saveexec_b32 s2, s2
	s_cbranch_execz .LBB18_22
; %bb.18:
	s_mov_b32 s8, exec_lo
	v_cmpx_gt_u32_e32 64, v0
	s_cbranch_execz .LBB18_21
; %bb.19:
	v_or_b32_e32 v3, 64, v0
	s_delay_alu instid0(VALU_DEP_1)
	v_cmp_gt_i32_e64 s0, s1, v3
	s_and_b32 exec_lo, exec_lo, s0
	s_cbranch_execz .LBB18_21
; %bb.20:
	ds_load_2addr_stride64_b64 v[8:11], v2 offset1:1
	s_wait_dscnt 0x0
	v_min_i64 v[4:5], v[8:9], v[10:11]
	ds_store_b64 v2, v[4:5]
.LBB18_21:
	s_or_b32 exec_lo, exec_lo, s8
.LBB18_22:
	s_delay_alu instid0(SALU_CYCLE_1) | instskip(SKIP_4) | instid1(SALU_CYCLE_1)
	s_or_b32 exec_lo, exec_lo, s2
	s_wait_dscnt 0x0
	s_barrier_signal -1
	s_barrier_wait -1
	s_and_saveexec_b32 s0, vcc_lo
	s_xor_b32 s2, exec_lo, s0
	s_cbranch_execz .LBB18_27
; %bb.23:
	s_mov_b32 s8, exec_lo
	v_cmpx_gt_u32_e32 0xa0, v0
	s_cbranch_execz .LBB18_26
; %bb.24:
	v_add_nc_u32_e32 v3, 0xffffffa0, v0
	s_delay_alu instid0(VALU_DEP_1)
	v_cmp_gt_i32_e64 s0, s1, v3
	s_and_b32 exec_lo, exec_lo, s0
	s_cbranch_execz .LBB18_26
; %bb.25:
	v_add_nc_u32_e32 v3, 0xfffffd00, v6
	ds_load_b64 v[4:5], v1
	ds_load_b64 v[8:9], v3
	s_wait_dscnt 0x0
	v_max_i64 v[4:5], v[4:5], v[8:9]
	ds_store_b64 v1, v[4:5]
.LBB18_26:
	s_or_b32 exec_lo, exec_lo, s8
.LBB18_27:
	s_and_not1_saveexec_b32 s2, s2
	s_cbranch_execz .LBB18_32
; %bb.28:
	s_mov_b32 s8, exec_lo
	v_cmpx_gt_u32_e32 32, v0
	s_cbranch_execz .LBB18_31
; %bb.29:
	v_or_b32_e32 v3, 32, v0
	s_delay_alu instid0(VALU_DEP_1)
	v_cmp_gt_i32_e64 s0, s1, v3
	s_and_b32 exec_lo, exec_lo, s0
	s_cbranch_execz .LBB18_31
; %bb.30:
	ds_load_2addr_b64 v[8:11], v2 offset1:32
	s_wait_dscnt 0x0
	v_min_i64 v[4:5], v[8:9], v[10:11]
	ds_store_b64 v2, v[4:5]
.LBB18_31:
	s_or_b32 exec_lo, exec_lo, s8
.LBB18_32:
	s_delay_alu instid0(SALU_CYCLE_1) | instskip(SKIP_4) | instid1(SALU_CYCLE_1)
	s_or_b32 exec_lo, exec_lo, s2
	s_wait_dscnt 0x0
	s_barrier_signal -1
	s_barrier_wait -1
	s_and_saveexec_b32 s0, vcc_lo
	s_xor_b32 s2, exec_lo, s0
	s_cbranch_execz .LBB18_37
; %bb.33:
	s_mov_b32 s8, exec_lo
	v_cmpx_gt_u32_e32 0x90, v0
	s_cbranch_execz .LBB18_36
; %bb.34:
	v_add_nc_u32_e32 v3, 0xffffff90, v0
	s_delay_alu instid0(VALU_DEP_1)
	v_cmp_gt_i32_e64 s0, s1, v3
	s_and_b32 exec_lo, exec_lo, s0
	s_cbranch_execz .LBB18_36
; %bb.35:
	v_add_nc_u32_e32 v3, 0xfffffc80, v6
	ds_load_b64 v[4:5], v1
	ds_load_b64 v[8:9], v3
	s_wait_dscnt 0x0
	v_max_i64 v[4:5], v[4:5], v[8:9]
	ds_store_b64 v1, v[4:5]
.LBB18_36:
	s_or_b32 exec_lo, exec_lo, s8
.LBB18_37:
	s_and_not1_saveexec_b32 s2, s2
	s_cbranch_execz .LBB18_42
; %bb.38:
	s_mov_b32 s8, exec_lo
	v_cmpx_gt_u32_e32 16, v0
	s_cbranch_execz .LBB18_41
; %bb.39:
	v_or_b32_e32 v3, 16, v0
	s_delay_alu instid0(VALU_DEP_1)
	v_cmp_gt_i32_e64 s0, s1, v3
	s_and_b32 exec_lo, exec_lo, s0
	s_cbranch_execz .LBB18_41
; %bb.40:
	ds_load_2addr_b64 v[8:11], v2 offset1:16
	s_wait_dscnt 0x0
	v_min_i64 v[4:5], v[8:9], v[10:11]
	ds_store_b64 v2, v[4:5]
.LBB18_41:
	s_or_b32 exec_lo, exec_lo, s8
.LBB18_42:
	;; [unrolled: 48-line block ×5, first 2 shown]
	s_delay_alu instid0(SALU_CYCLE_1)
	s_or_b32 exec_lo, exec_lo, s2
	s_cmp_gt_i32 s1, 1
	s_wait_dscnt 0x0
	s_cselect_b32 s0, -1, 0
	s_barrier_signal -1
	s_barrier_wait -1
	s_and_saveexec_b32 s1, vcc_lo
	s_delay_alu instid0(SALU_CYCLE_1)
	s_xor_b32 s1, exec_lo, s1
	s_cbranch_execz .LBB18_76
; %bb.73:
	v_cmp_eq_u32_e32 vcc_lo, 0x80, v0
	s_and_b32 s8, vcc_lo, s0
	s_delay_alu instid0(SALU_CYCLE_1)
	s_and_saveexec_b32 s2, s8
	s_cbranch_execz .LBB18_75
; %bb.74:
	v_mov_b32_e32 v4, 0
	ds_load_b64 v[2:3], v1
	ds_load_b64 v[4:5], v4 offset:8
	s_wait_dscnt 0x0
	v_max_i64 v[2:3], v[2:3], v[4:5]
	ds_store_b64 v1, v[2:3]
.LBB18_75:
	s_or_b32 exec_lo, exec_lo, s2
                                        ; implicit-def: $vgpr2
.LBB18_76:
	s_and_not1_saveexec_b32 s1, s1
	s_cbranch_execz .LBB18_80
; %bb.77:
	v_cmp_eq_u32_e32 vcc_lo, 0, v0
	s_and_b32 s2, vcc_lo, s0
	s_delay_alu instid0(SALU_CYCLE_1)
	s_and_saveexec_b32 s0, s2
	s_cbranch_execz .LBB18_79
; %bb.78:
	v_mov_b32_e32 v1, 0
	ds_load_b64 v[4:5], v2
	ds_load_b64 v[6:7], v1 offset:2056
	s_wait_dscnt 0x0
	v_min_i64 v[4:5], v[4:5], v[6:7]
	ds_store_b64 v2, v[4:5]
.LBB18_79:
	s_or_b32 exec_lo, exec_lo, s0
.LBB18_80:
	s_delay_alu instid0(SALU_CYCLE_1)
	s_or_b32 exec_lo, exec_lo, s1
	s_wait_dscnt 0x0
	s_barrier_signal -1
	s_barrier_wait -1
	s_mov_b32 s0, exec_lo
	v_cmpx_eq_u32_e32 0, v0
	s_cbranch_execz .LBB18_82
; %bb.81:
	v_dual_mov_b32 v0, 0 :: v_dual_mov_b32 v4, s3
	ds_load_2addr_stride64_b64 v[0:3], v0 offset1:4
	s_wait_dscnt 0x0
	s_clause 0x1
	global_store_b64 v4, v[2:3], s[4:5] scale_offset
	global_store_b64 v4, v[0:1], s[6:7] scale_offset
.LBB18_82:
	s_endpgm
.LBB18_83:
.LBB18_84:
	s_load_b32 s0, s[0:1], 0x20
	s_wait_xcnt 0x0
	s_lshl_b32 s1, s3, 8
	v_mov_b64_e32 v[2:3], 0
	v_mov_b64_e32 v[4:5], 0
	v_add_nc_u32_e32 v1, s1, v0
	s_mov_b32 s11, 0
	s_sub_co_i32 s2, s2, s1
	s_mov_b32 s1, 0
	s_wait_kmcnt 0x0
	s_lshl_b32 s12, s0, 8
	s_branch .LBB18_86
.LBB18_85:                              ;   in Loop: Header=BB18_86 Depth=1
	s_or_b32 exec_lo, exec_lo, s14
	s_add_co_i32 s11, s11, s0
	v_add_nc_u32_e32 v1, s12, v1
	s_max_i32 s1, s1, s13
	s_add_co_i32 s13, s3, s11
	s_sub_co_i32 s2, s2, s12
	s_cmp_ge_i32 s13, s10
	s_cbranch_scc1 .LBB18_4
.LBB18_86:                              ; =>This Inner Loop Header: Depth=1
	s_min_i32 s13, s2, 0x100
	s_mov_b32 s14, exec_lo
	v_cmpx_gt_u32_e64 s13, v0
	s_cbranch_execz .LBB18_85
; %bb.87:                               ;   in Loop: Header=BB18_86 Depth=1
	global_load_b64 v[6:7], v1, s[8:9] scale_offset
	s_cmp_eq_u32 s11, 0
	s_cselect_b32 vcc_lo, -1, 0
	s_wait_loadcnt 0x0
	v_max_i64 v[4:5], v[6:7], v[4:5]
	v_min_i64 v[2:3], v[6:7], v[2:3]
	s_delay_alu instid0(VALU_DEP_2) | instskip(NEXT) | instid1(VALU_DEP_2)
	v_dual_cndmask_b32 v5, v5, v7 :: v_dual_cndmask_b32 v4, v4, v6
	v_dual_cndmask_b32 v3, v3, v7 :: v_dual_cndmask_b32 v2, v2, v6
	s_branch .LBB18_85
	.section	.rodata,"a",@progbits
	.p2align	6, 0x0
	.amdhsa_kernel _Z23bitPackConfigScanKernelIxxEvPT_S1_PKT0_PKm
		.amdhsa_group_segment_fixed_size 4096
		.amdhsa_private_segment_fixed_size 0
		.amdhsa_kernarg_size 288
		.amdhsa_user_sgpr_count 2
		.amdhsa_user_sgpr_dispatch_ptr 0
		.amdhsa_user_sgpr_queue_ptr 0
		.amdhsa_user_sgpr_kernarg_segment_ptr 1
		.amdhsa_user_sgpr_dispatch_id 0
		.amdhsa_user_sgpr_kernarg_preload_length 0
		.amdhsa_user_sgpr_kernarg_preload_offset 0
		.amdhsa_user_sgpr_private_segment_size 0
		.amdhsa_wavefront_size32 1
		.amdhsa_uses_dynamic_stack 0
		.amdhsa_enable_private_segment 0
		.amdhsa_system_sgpr_workgroup_id_x 1
		.amdhsa_system_sgpr_workgroup_id_y 0
		.amdhsa_system_sgpr_workgroup_id_z 0
		.amdhsa_system_sgpr_workgroup_info 0
		.amdhsa_system_vgpr_workitem_id 0
		.amdhsa_next_free_vgpr 12
		.amdhsa_next_free_sgpr 15
		.amdhsa_named_barrier_count 0
		.amdhsa_reserve_vcc 1
		.amdhsa_float_round_mode_32 0
		.amdhsa_float_round_mode_16_64 0
		.amdhsa_float_denorm_mode_32 3
		.amdhsa_float_denorm_mode_16_64 3
		.amdhsa_fp16_overflow 0
		.amdhsa_memory_ordered 1
		.amdhsa_forward_progress 1
		.amdhsa_inst_pref_size 16
		.amdhsa_round_robin_scheduling 0
		.amdhsa_exception_fp_ieee_invalid_op 0
		.amdhsa_exception_fp_denorm_src 0
		.amdhsa_exception_fp_ieee_div_zero 0
		.amdhsa_exception_fp_ieee_overflow 0
		.amdhsa_exception_fp_ieee_underflow 0
		.amdhsa_exception_fp_ieee_inexact 0
		.amdhsa_exception_int_div_zero 0
	.end_amdhsa_kernel
	.section	.text._Z23bitPackConfigScanKernelIxxEvPT_S1_PKT0_PKm,"axG",@progbits,_Z23bitPackConfigScanKernelIxxEvPT_S1_PKT0_PKm,comdat
.Lfunc_end18:
	.size	_Z23bitPackConfigScanKernelIxxEvPT_S1_PKT0_PKm, .Lfunc_end18-_Z23bitPackConfigScanKernelIxxEvPT_S1_PKT0_PKm
                                        ; -- End function
	.set _Z23bitPackConfigScanKernelIxxEvPT_S1_PKT0_PKm.num_vgpr, 12
	.set _Z23bitPackConfigScanKernelIxxEvPT_S1_PKT0_PKm.num_agpr, 0
	.set _Z23bitPackConfigScanKernelIxxEvPT_S1_PKT0_PKm.numbered_sgpr, 15
	.set _Z23bitPackConfigScanKernelIxxEvPT_S1_PKT0_PKm.num_named_barrier, 0
	.set _Z23bitPackConfigScanKernelIxxEvPT_S1_PKT0_PKm.private_seg_size, 0
	.set _Z23bitPackConfigScanKernelIxxEvPT_S1_PKT0_PKm.uses_vcc, 1
	.set _Z23bitPackConfigScanKernelIxxEvPT_S1_PKT0_PKm.uses_flat_scratch, 0
	.set _Z23bitPackConfigScanKernelIxxEvPT_S1_PKT0_PKm.has_dyn_sized_stack, 0
	.set _Z23bitPackConfigScanKernelIxxEvPT_S1_PKT0_PKm.has_recursion, 0
	.set _Z23bitPackConfigScanKernelIxxEvPT_S1_PKT0_PKm.has_indirect_call, 0
	.section	.AMDGPU.csdata,"",@progbits
; Kernel info:
; codeLenInByte = 1964
; TotalNumSgprs: 17
; NumVgprs: 12
; ScratchSize: 0
; MemoryBound: 0
; FloatMode: 240
; IeeeMode: 1
; LDSByteSize: 4096 bytes/workgroup (compile time only)
; SGPRBlocks: 0
; VGPRBlocks: 0
; NumSGPRsForWavesPerEU: 17
; NumVGPRsForWavesPerEU: 12
; NamedBarCnt: 0
; Occupancy: 16
; WaveLimiterHint : 0
; COMPUTE_PGM_RSRC2:SCRATCH_EN: 0
; COMPUTE_PGM_RSRC2:USER_SGPR: 2
; COMPUTE_PGM_RSRC2:TRAP_HANDLER: 0
; COMPUTE_PGM_RSRC2:TGID_X_EN: 1
; COMPUTE_PGM_RSRC2:TGID_Y_EN: 0
; COMPUTE_PGM_RSRC2:TGID_Z_EN: 0
; COMPUTE_PGM_RSRC2:TIDIG_COMP_CNT: 0
	.section	.text._Z27bitPackConfigFinalizeKernelIxxEvPKT_S2_PhPT0_PKm,"axG",@progbits,_Z27bitPackConfigFinalizeKernelIxxEvPKT_S2_PhPT0_PKm,comdat
	.protected	_Z27bitPackConfigFinalizeKernelIxxEvPKT_S2_PhPT0_PKm ; -- Begin function _Z27bitPackConfigFinalizeKernelIxxEvPKT_S2_PhPT0_PKm
	.globl	_Z27bitPackConfigFinalizeKernelIxxEvPKT_S2_PhPT0_PKm
	.p2align	8
	.type	_Z27bitPackConfigFinalizeKernelIxxEvPKT_S2_PhPT0_PKm,@function
_Z27bitPackConfigFinalizeKernelIxxEvPKT_S2_PhPT0_PKm: ; @_Z27bitPackConfigFinalizeKernelIxxEvPKT_S2_PhPT0_PKm
; %bb.0:
	s_load_b64 s[2:3], s[0:1], 0x20
	s_wait_kmcnt 0x0
	s_load_b64 s[2:3], s[2:3], 0x0
	s_wait_kmcnt 0x0
	s_and_b64 s[4:5], s[2:3], 0xff
	s_lshr_b64 s[2:3], s[2:3], 8
	s_cmp_lg_u64 s[4:5], 0
	s_mov_b32 s4, 0
	s_cselect_b32 s5, -1, 0
	v_mov_b32_e32 v3, s4
	v_cndmask_b32_e64 v2, 0, 1, s5
	s_load_b256 s[4:11], s[0:1], 0x0
	s_wait_xcnt 0x0
	s_mov_b32 s1, exec_lo
	s_delay_alu instid0(VALU_DEP_1) | instskip(NEXT) | instid1(VALU_DEP_1)
	v_add_nc_u64_e32 v[2:3], s[2:3], v[2:3]
	v_min_u64 v[4:5], 0x1000, v[2:3]
	s_delay_alu instid0(VALU_DEP_1)
	v_cmpx_lt_u32_e64 v0, v4
	s_cbranch_execz .LBB19_6
; %bb.1:
	s_wait_kmcnt 0x0
	s_clause 0x1
	global_load_b64 v[6:7], v0, s[4:5] scale_offset
	global_load_b64 v[8:9], v0, s[6:7] scale_offset
	v_add_nc_u32_e32 v1, 0x100, v0
	s_mov_b32 s2, exec_lo
	s_wait_xcnt 0x0
	s_delay_alu instid0(VALU_DEP_1)
	v_cmpx_lt_u32_e64 v1, v4
	s_cbranch_execz .LBB19_5
; %bb.2:
	v_dual_mov_b32 v11, 0 :: v_dual_lshlrev_b32 v10, 3, v0
	s_mov_b32 s3, 0
	s_delay_alu instid0(VALU_DEP_1) | instskip(NEXT) | instid1(VALU_DEP_1)
	v_add_nc_u64_e32 v[12:13], 0x800, v[10:11]
	v_add_nc_u64_e32 v[10:11], s[4:5], v[12:13]
	;; [unrolled: 1-line block ×3, first 2 shown]
.LBB19_3:                               ; =>This Inner Loop Header: Depth=1
	global_load_b64 v[14:15], v[10:11], off
	global_load_b64 v[16:17], v[12:13], off
	v_add_nc_u32_e32 v5, 0x100, v1
	v_cmp_lt_u32_e32 vcc_lo, 0xeff, v1
	s_wait_xcnt 0x1
	v_add_nc_u64_e32 v[10:11], 0x800, v[10:11]
	s_wait_xcnt 0x0
	v_add_nc_u64_e32 v[12:13], 0x800, v[12:13]
	v_cmp_ge_u32_e64 s0, v5, v4
	v_mov_b32_e32 v1, v5
	s_or_b32 s0, vcc_lo, s0
	s_delay_alu instid0(SALU_CYCLE_1) | instskip(NEXT) | instid1(SALU_CYCLE_1)
	s_and_b32 s0, exec_lo, s0
	s_or_b32 s3, s0, s3
	s_wait_loadcnt 0x1
	v_min_i64 v[6:7], v[14:15], v[6:7]
	s_wait_loadcnt 0x0
	v_max_i64 v[8:9], v[16:17], v[8:9]
	s_and_not1_b32 exec_lo, exec_lo, s3
	s_cbranch_execnz .LBB19_3
; %bb.4:
	s_or_b32 exec_lo, exec_lo, s3
.LBB19_5:
	s_delay_alu instid0(SALU_CYCLE_1)
	s_or_b32 exec_lo, exec_lo, s2
	v_lshlrev_b32_e32 v1, 3, v0
	s_wait_loadcnt 0x0
	ds_store_2addr_stride64_b64 v1, v[8:9], v[6:7] offset1:4
.LBB19_6:
	s_or_b32 exec_lo, exec_lo, s1
	v_lshlrev_b32_e32 v6, 3, v0
	v_min_u32_e32 v5, 0x100, v4
	v_cmp_lt_u32_e32 vcc_lo, 0x7f, v0
	s_wait_dscnt 0x0
	s_barrier_signal -1
	v_add_nc_u32_e32 v1, 0xfffffc00, v6
	s_barrier_wait -1
	s_and_saveexec_b32 s0, vcc_lo
	s_delay_alu instid0(SALU_CYCLE_1)
	s_xor_b32 s1, exec_lo, s0
	s_cbranch_execz .LBB19_10
; %bb.7:
	s_mov_b32 s2, exec_lo
	v_cmpx_lt_u32_e64 v0, v5
	s_cbranch_execz .LBB19_9
; %bb.8:
	ds_load_b64 v[8:9], v1
	ds_load_b64 v[10:11], v6
	s_wait_dscnt 0x0
	v_max_i64 v[8:9], v[8:9], v[10:11]
	ds_store_b64 v1, v[8:9]
.LBB19_9:
	s_or_b32 exec_lo, exec_lo, s2
.LBB19_10:
	s_or_saveexec_b32 s1, s1
	v_add_nc_u32_e32 v4, 0x800, v6
	s_xor_b32 exec_lo, exec_lo, s1
	s_cbranch_execz .LBB19_14
; %bb.11:
	v_or_b32_e32 v7, 0x80, v0
	s_mov_b32 s2, exec_lo
	s_delay_alu instid0(VALU_DEP_1)
	v_cmpx_lt_u32_e64 v7, v5
	s_cbranch_execz .LBB19_13
; %bb.12:
	ds_load_2addr_stride64_b64 v[8:11], v4 offset1:2
	s_wait_dscnt 0x0
	v_min_i64 v[8:9], v[8:9], v[10:11]
	ds_store_b64 v4, v[8:9]
.LBB19_13:
	s_or_b32 exec_lo, exec_lo, s2
.LBB19_14:
	s_delay_alu instid0(SALU_CYCLE_1) | instskip(SKIP_4) | instid1(SALU_CYCLE_1)
	s_or_b32 exec_lo, exec_lo, s1
	s_wait_dscnt 0x0
	s_barrier_signal -1
	s_barrier_wait -1
	s_and_saveexec_b32 s0, vcc_lo
	s_xor_b32 s1, exec_lo, s0
	s_cbranch_execz .LBB19_19
; %bb.15:
	s_mov_b32 s2, exec_lo
	v_cmpx_gt_u32_e32 0xc0, v0
	s_cbranch_execz .LBB19_18
; %bb.16:
	v_subrev_nc_u32_e32 v7, 64, v0
	s_delay_alu instid0(VALU_DEP_1)
	v_cmp_lt_u32_e64 s0, v7, v5
	s_and_b32 exec_lo, exec_lo, s0
	s_cbranch_execz .LBB19_18
; %bb.17:
	v_add_nc_u32_e32 v7, 0xfffffe00, v6
	ds_load_b64 v[8:9], v1
	ds_load_b64 v[10:11], v7
	s_wait_dscnt 0x0
	v_max_i64 v[8:9], v[8:9], v[10:11]
	ds_store_b64 v1, v[8:9]
.LBB19_18:
	s_or_b32 exec_lo, exec_lo, s2
.LBB19_19:
	s_and_not1_saveexec_b32 s1, s1
	s_cbranch_execz .LBB19_24
; %bb.20:
	s_mov_b32 s2, exec_lo
	v_cmpx_gt_u32_e32 64, v0
	s_cbranch_execz .LBB19_23
; %bb.21:
	v_or_b32_e32 v7, 64, v0
	s_delay_alu instid0(VALU_DEP_1)
	v_cmp_lt_u32_e64 s0, v7, v5
	s_and_b32 exec_lo, exec_lo, s0
	s_cbranch_execz .LBB19_23
; %bb.22:
	ds_load_2addr_stride64_b64 v[8:11], v4 offset1:1
	s_wait_dscnt 0x0
	v_min_i64 v[8:9], v[8:9], v[10:11]
	ds_store_b64 v4, v[8:9]
.LBB19_23:
	s_or_b32 exec_lo, exec_lo, s2
.LBB19_24:
	s_delay_alu instid0(SALU_CYCLE_1) | instskip(SKIP_4) | instid1(SALU_CYCLE_1)
	s_or_b32 exec_lo, exec_lo, s1
	s_wait_dscnt 0x0
	s_barrier_signal -1
	s_barrier_wait -1
	s_and_saveexec_b32 s0, vcc_lo
	s_xor_b32 s1, exec_lo, s0
	s_cbranch_execz .LBB19_29
; %bb.25:
	s_mov_b32 s2, exec_lo
	v_cmpx_gt_u32_e32 0xa0, v0
	s_cbranch_execz .LBB19_28
; %bb.26:
	v_add_nc_u32_e32 v7, 0xffffffa0, v0
	s_delay_alu instid0(VALU_DEP_1)
	v_cmp_lt_u32_e64 s0, v7, v5
	s_and_b32 exec_lo, exec_lo, s0
	s_cbranch_execz .LBB19_28
; %bb.27:
	v_add_nc_u32_e32 v7, 0xfffffd00, v6
	ds_load_b64 v[8:9], v1
	ds_load_b64 v[10:11], v7
	s_wait_dscnt 0x0
	v_max_i64 v[8:9], v[8:9], v[10:11]
	ds_store_b64 v1, v[8:9]
.LBB19_28:
	s_or_b32 exec_lo, exec_lo, s2
.LBB19_29:
	s_and_not1_saveexec_b32 s1, s1
	s_cbranch_execz .LBB19_34
; %bb.30:
	s_mov_b32 s2, exec_lo
	v_cmpx_gt_u32_e32 32, v0
	s_cbranch_execz .LBB19_33
; %bb.31:
	v_or_b32_e32 v7, 32, v0
	s_delay_alu instid0(VALU_DEP_1)
	v_cmp_lt_u32_e64 s0, v7, v5
	s_and_b32 exec_lo, exec_lo, s0
	s_cbranch_execz .LBB19_33
; %bb.32:
	ds_load_2addr_b64 v[8:11], v4 offset1:32
	s_wait_dscnt 0x0
	v_min_i64 v[8:9], v[8:9], v[10:11]
	ds_store_b64 v4, v[8:9]
.LBB19_33:
	s_or_b32 exec_lo, exec_lo, s2
.LBB19_34:
	s_delay_alu instid0(SALU_CYCLE_1) | instskip(SKIP_4) | instid1(SALU_CYCLE_1)
	s_or_b32 exec_lo, exec_lo, s1
	s_wait_dscnt 0x0
	s_barrier_signal -1
	s_barrier_wait -1
	s_and_saveexec_b32 s0, vcc_lo
	s_xor_b32 s1, exec_lo, s0
	s_cbranch_execz .LBB19_39
; %bb.35:
	s_mov_b32 s2, exec_lo
	v_cmpx_gt_u32_e32 0x90, v0
	s_cbranch_execz .LBB19_38
; %bb.36:
	v_add_nc_u32_e32 v7, 0xffffff90, v0
	s_delay_alu instid0(VALU_DEP_1)
	v_cmp_lt_u32_e64 s0, v7, v5
	s_and_b32 exec_lo, exec_lo, s0
	s_cbranch_execz .LBB19_38
; %bb.37:
	v_add_nc_u32_e32 v7, 0xfffffc80, v6
	ds_load_b64 v[8:9], v1
	ds_load_b64 v[10:11], v7
	s_wait_dscnt 0x0
	v_max_i64 v[8:9], v[8:9], v[10:11]
	ds_store_b64 v1, v[8:9]
.LBB19_38:
	s_or_b32 exec_lo, exec_lo, s2
.LBB19_39:
	s_and_not1_saveexec_b32 s1, s1
	s_cbranch_execz .LBB19_44
; %bb.40:
	s_mov_b32 s2, exec_lo
	v_cmpx_gt_u32_e32 16, v0
	s_cbranch_execz .LBB19_43
; %bb.41:
	v_or_b32_e32 v7, 16, v0
	s_delay_alu instid0(VALU_DEP_1)
	v_cmp_lt_u32_e64 s0, v7, v5
	s_and_b32 exec_lo, exec_lo, s0
	s_cbranch_execz .LBB19_43
; %bb.42:
	ds_load_2addr_b64 v[8:11], v4 offset1:16
	s_wait_dscnt 0x0
	v_min_i64 v[8:9], v[8:9], v[10:11]
	ds_store_b64 v4, v[8:9]
.LBB19_43:
	s_or_b32 exec_lo, exec_lo, s2
.LBB19_44:
	;; [unrolled: 48-line block ×4, first 2 shown]
	s_delay_alu instid0(SALU_CYCLE_1) | instskip(SKIP_4) | instid1(SALU_CYCLE_1)
	s_or_b32 exec_lo, exec_lo, s1
	s_wait_dscnt 0x0
	s_barrier_signal -1
	s_barrier_wait -1
	s_and_saveexec_b32 s0, vcc_lo
	s_xor_b32 s1, exec_lo, s0
	s_cbranch_execz .LBB19_69
; %bb.65:
	s_mov_b32 s2, exec_lo
	v_cmpx_gt_u32_e32 0x82, v0
	s_cbranch_execz .LBB19_68
; %bb.66:
	v_add_nc_u32_e32 v7, 0xffffff82, v0
	s_delay_alu instid0(VALU_DEP_1)
	v_cmp_lt_u32_e64 s0, v7, v5
	s_and_b32 exec_lo, exec_lo, s0
	s_cbranch_execz .LBB19_68
; %bb.67:
	v_add_nc_u32_e32 v5, 0xfffffc10, v6
	ds_load_b64 v[6:7], v1
	ds_load_b64 v[8:9], v5
	s_wait_dscnt 0x0
	v_max_i64 v[6:7], v[6:7], v[8:9]
	ds_store_b64 v1, v[6:7]
.LBB19_68:
	s_or_b32 exec_lo, exec_lo, s2
                                        ; implicit-def: $vgpr5
.LBB19_69:
	s_and_not1_saveexec_b32 s1, s1
	s_cbranch_execz .LBB19_74
; %bb.70:
	s_mov_b32 s2, exec_lo
	v_cmpx_gt_u32_e32 2, v0
	s_cbranch_execz .LBB19_73
; %bb.71:
	v_or_b32_e32 v6, 2, v0
	s_delay_alu instid0(VALU_DEP_1)
	v_cmp_lt_u32_e64 s0, v6, v5
	s_and_b32 exec_lo, exec_lo, s0
	s_cbranch_execz .LBB19_73
; %bb.72:
	ds_load_2addr_b64 v[6:9], v4 offset1:2
	s_wait_dscnt 0x0
	v_min_i64 v[6:7], v[6:7], v[8:9]
	ds_store_b64 v4, v[6:7]
.LBB19_73:
	s_or_b32 exec_lo, exec_lo, s2
.LBB19_74:
	s_delay_alu instid0(SALU_CYCLE_1)
	s_or_b32 exec_lo, exec_lo, s1
	v_cmp_lt_u64_e64 s0, 1, v[2:3]
	s_wait_dscnt 0x0
	s_barrier_signal -1
	s_barrier_wait -1
	s_and_saveexec_b32 s1, vcc_lo
	s_delay_alu instid0(SALU_CYCLE_1)
	s_xor_b32 s1, exec_lo, s1
	s_cbranch_execz .LBB19_78
; %bb.75:
	v_cmp_eq_u32_e32 vcc_lo, 0x80, v0
	s_and_b32 s3, vcc_lo, s0
	s_delay_alu instid0(SALU_CYCLE_1)
	s_and_saveexec_b32 s2, s3
	s_cbranch_execz .LBB19_77
; %bb.76:
	v_mov_b32_e32 v4, 0
	ds_load_b64 v[2:3], v1
	ds_load_b64 v[4:5], v4 offset:8
	s_wait_dscnt 0x0
	v_max_i64 v[2:3], v[2:3], v[4:5]
	ds_store_b64 v1, v[2:3]
.LBB19_77:
	s_or_b32 exec_lo, exec_lo, s2
                                        ; implicit-def: $vgpr4
.LBB19_78:
	s_and_not1_saveexec_b32 s1, s1
	s_cbranch_execz .LBB19_82
; %bb.79:
	v_cmp_eq_u32_e32 vcc_lo, 0, v0
	s_and_b32 s2, vcc_lo, s0
	s_delay_alu instid0(SALU_CYCLE_1)
	s_and_saveexec_b32 s0, s2
	s_cbranch_execz .LBB19_81
; %bb.80:
	v_mov_b32_e32 v1, 0
	ds_load_b64 v[2:3], v4
	ds_load_b64 v[6:7], v1 offset:2056
	s_wait_dscnt 0x0
	v_min_i64 v[2:3], v[2:3], v[6:7]
	ds_store_b64 v4, v[2:3]
.LBB19_81:
	s_or_b32 exec_lo, exec_lo, s0
.LBB19_82:
	s_delay_alu instid0(SALU_CYCLE_1)
	s_or_b32 exec_lo, exec_lo, s1
	s_wait_dscnt 0x0
	s_barrier_signal -1
	s_barrier_wait -1
	s_mov_b32 s0, exec_lo
	v_cmpx_eq_u32_e32 0, v0
	s_cbranch_execz .LBB19_84
; %bb.83:
	v_mov_b32_e32 v4, 0
	ds_load_2addr_stride64_b64 v[0:3], v4 offset1:4
	s_wait_dscnt 0x0
	v_sub_nc_u64_e32 v[0:1], v[0:1], v[2:3]
	s_delay_alu instid0(VALU_DEP_1) | instskip(NEXT) | instid1(VALU_DEP_2)
	v_clz_i32_u32_e32 v0, v0
	v_clz_i32_u32_e32 v1, v1
	s_delay_alu instid0(VALU_DEP_2) | instskip(NEXT) | instid1(VALU_DEP_1)
	v_add_nc_u32_e64 v0, v0, 32 clamp
	v_min_u32_e32 v0, v0, v1
	s_delay_alu instid0(VALU_DEP_1)
	v_sub_nc_u32_e64 v0, 64, v0 clamp
	s_wait_kmcnt 0x0
	s_clause 0x1
	global_store_b64 v4, v[2:3], s[10:11]
	global_store_b8 v4, v0, s[8:9]
.LBB19_84:
	s_endpgm
	.section	.rodata,"a",@progbits
	.p2align	6, 0x0
	.amdhsa_kernel _Z27bitPackConfigFinalizeKernelIxxEvPKT_S2_PhPT0_PKm
		.amdhsa_group_segment_fixed_size 4096
		.amdhsa_private_segment_fixed_size 0
		.amdhsa_kernarg_size 40
		.amdhsa_user_sgpr_count 2
		.amdhsa_user_sgpr_dispatch_ptr 0
		.amdhsa_user_sgpr_queue_ptr 0
		.amdhsa_user_sgpr_kernarg_segment_ptr 1
		.amdhsa_user_sgpr_dispatch_id 0
		.amdhsa_user_sgpr_kernarg_preload_length 0
		.amdhsa_user_sgpr_kernarg_preload_offset 0
		.amdhsa_user_sgpr_private_segment_size 0
		.amdhsa_wavefront_size32 1
		.amdhsa_uses_dynamic_stack 0
		.amdhsa_enable_private_segment 0
		.amdhsa_system_sgpr_workgroup_id_x 1
		.amdhsa_system_sgpr_workgroup_id_y 0
		.amdhsa_system_sgpr_workgroup_id_z 0
		.amdhsa_system_sgpr_workgroup_info 0
		.amdhsa_system_vgpr_workitem_id 0
		.amdhsa_next_free_vgpr 18
		.amdhsa_next_free_sgpr 12
		.amdhsa_named_barrier_count 0
		.amdhsa_reserve_vcc 1
		.amdhsa_float_round_mode_32 0
		.amdhsa_float_round_mode_16_64 0
		.amdhsa_float_denorm_mode_32 3
		.amdhsa_float_denorm_mode_16_64 3
		.amdhsa_fp16_overflow 0
		.amdhsa_memory_ordered 1
		.amdhsa_forward_progress 1
		.amdhsa_inst_pref_size 17
		.amdhsa_round_robin_scheduling 0
		.amdhsa_exception_fp_ieee_invalid_op 0
		.amdhsa_exception_fp_denorm_src 0
		.amdhsa_exception_fp_ieee_div_zero 0
		.amdhsa_exception_fp_ieee_overflow 0
		.amdhsa_exception_fp_ieee_underflow 0
		.amdhsa_exception_fp_ieee_inexact 0
		.amdhsa_exception_int_div_zero 0
	.end_amdhsa_kernel
	.section	.text._Z27bitPackConfigFinalizeKernelIxxEvPKT_S2_PhPT0_PKm,"axG",@progbits,_Z27bitPackConfigFinalizeKernelIxxEvPKT_S2_PhPT0_PKm,comdat
.Lfunc_end19:
	.size	_Z27bitPackConfigFinalizeKernelIxxEvPKT_S2_PhPT0_PKm, .Lfunc_end19-_Z27bitPackConfigFinalizeKernelIxxEvPKT_S2_PhPT0_PKm
                                        ; -- End function
	.set _Z27bitPackConfigFinalizeKernelIxxEvPKT_S2_PhPT0_PKm.num_vgpr, 18
	.set _Z27bitPackConfigFinalizeKernelIxxEvPKT_S2_PhPT0_PKm.num_agpr, 0
	.set _Z27bitPackConfigFinalizeKernelIxxEvPKT_S2_PhPT0_PKm.numbered_sgpr, 12
	.set _Z27bitPackConfigFinalizeKernelIxxEvPKT_S2_PhPT0_PKm.num_named_barrier, 0
	.set _Z27bitPackConfigFinalizeKernelIxxEvPKT_S2_PhPT0_PKm.private_seg_size, 0
	.set _Z27bitPackConfigFinalizeKernelIxxEvPKT_S2_PhPT0_PKm.uses_vcc, 1
	.set _Z27bitPackConfigFinalizeKernelIxxEvPKT_S2_PhPT0_PKm.uses_flat_scratch, 0
	.set _Z27bitPackConfigFinalizeKernelIxxEvPKT_S2_PhPT0_PKm.has_dyn_sized_stack, 0
	.set _Z27bitPackConfigFinalizeKernelIxxEvPKT_S2_PhPT0_PKm.has_recursion, 0
	.set _Z27bitPackConfigFinalizeKernelIxxEvPKT_S2_PhPT0_PKm.has_indirect_call, 0
	.section	.AMDGPU.csdata,"",@progbits
; Kernel info:
; codeLenInByte = 2064
; TotalNumSgprs: 14
; NumVgprs: 18
; ScratchSize: 0
; MemoryBound: 0
; FloatMode: 240
; IeeeMode: 1
; LDSByteSize: 4096 bytes/workgroup (compile time only)
; SGPRBlocks: 0
; VGPRBlocks: 1
; NumSGPRsForWavesPerEU: 14
; NumVGPRsForWavesPerEU: 18
; NamedBarCnt: 0
; Occupancy: 16
; WaveLimiterHint : 0
; COMPUTE_PGM_RSRC2:SCRATCH_EN: 0
; COMPUTE_PGM_RSRC2:USER_SGPR: 2
; COMPUTE_PGM_RSRC2:TRAP_HANDLER: 0
; COMPUTE_PGM_RSRC2:TGID_X_EN: 1
; COMPUTE_PGM_RSRC2:TGID_Y_EN: 0
; COMPUTE_PGM_RSRC2:TGID_Z_EN: 0
; COMPUTE_PGM_RSRC2:TIDIG_COMP_CNT: 0
	.section	.text._Z13bitPackKernelIxmEvPKhPKT_PT0_S4_PKm,"axG",@progbits,_Z13bitPackKernelIxmEvPKhPKT_PT0_S4_PKm,comdat
	.protected	_Z13bitPackKernelIxmEvPKhPKT_PT0_S4_PKm ; -- Begin function _Z13bitPackKernelIxmEvPKhPKT_PT0_S4_PKm
	.globl	_Z13bitPackKernelIxmEvPKhPKT_PT0_S4_PKm
	.p2align	8
	.type	_Z13bitPackKernelIxmEvPKhPKT_PT0_S4_PKm,@function
_Z13bitPackKernelIxmEvPKhPKT_PT0_S4_PKm: ; @_Z13bitPackKernelIxmEvPKhPKT_PT0_S4_PKm
; %bb.0:
	s_load_b64 s[2:3], s[0:1], 0x20
	s_mov_b32 s13, 0
	s_wait_kmcnt 0x0
	s_load_b64 s[2:3], s[2:3], 0x0
	s_wait_kmcnt 0x0
	s_and_b64 s[4:5], s[2:3], 0xff
	s_lshr_b64 s[6:7], s[2:3], 8
	s_cmp_lg_u64 s[4:5], 0
	s_cselect_b32 s4, -1, 0
	s_delay_alu instid0(SALU_CYCLE_1)
	s_cmp_lg_u32 s4, 0
	s_add_co_ci_u32 s22, s6, 0
	s_bfe_u32 s4, ttmp6, 0x4000c
	s_and_b32 s5, ttmp6, 15
	s_add_co_i32 s4, s4, 1
	s_getreg_b32 s6, hwreg(HW_REG_IB_STS2, 6, 4)
	s_mul_i32 s4, ttmp9, s4
	s_delay_alu instid0(SALU_CYCLE_1) | instskip(SKIP_2) | instid1(SALU_CYCLE_1)
	s_add_co_i32 s5, s5, s4
	s_cmp_eq_u32 s6, 0
	s_cselect_b32 s23, ttmp9, s5
	s_cmp_ge_i32 s23, s22
	s_cbranch_scc1 .LBB20_36
; %bb.1:
	s_load_b256 s[4:11], s[0:1], 0x0
	v_mov_b32_e32 v2, 0
	s_wait_xcnt 0x0
	s_load_b32 s1, s[0:1], 0x28
	s_bfe_i64 s[14:15], s[2:3], 0x200000
	s_wait_kmcnt 0x0
	global_load_u8 v3, v2, s[4:5]
	s_load_b64 s[6:7], s[6:7], 0x0
	s_wait_loadcnt 0x0
	v_readfirstlane_b32 s12, v3
	v_and_b32_e32 v24, 0xff, v3
	s_and_b64 s[4:5], s[12:13], 0xff
	s_delay_alu instid0(SALU_CYCLE_1) | instskip(SKIP_2) | instid1(VALU_DEP_1)
	v_cvt_f32_ubyte0_e32 v1, s4
	s_sub_nc_u64 s[16:17], 0, s[4:5]
	s_sub_co_i32 s24, 0, s4
	v_fmac_f32_e64 v1, 0x4f800000, 0
	s_delay_alu instid0(VALU_DEP_1) | instskip(SKIP_1) | instid1(TRANS32_DEP_1)
	v_rcp_f32_e32 v1, v1
	v_nop
	v_mul_f32_e32 v4, 0x5f7ffffc, v1
	s_delay_alu instid0(VALU_DEP_1) | instskip(NEXT) | instid1(VALU_DEP_1)
	v_mul_f32_e32 v1, 0x2f800000, v4
	v_trunc_f32_e32 v5, v1
	s_delay_alu instid0(VALU_DEP_1) | instskip(SKIP_1) | instid1(VALU_DEP_2)
	v_dual_fmac_f32 v4, 0xcf800000, v5 :: v_dual_lshlrev_b32 v1, 3, v0
	v_cvt_u32_f32_e32 v5, v5
	v_cvt_u32_f32_e32 v4, v4
	s_branch .LBB20_3
.LBB20_2:                               ;   in Loop: Header=BB20_3 Depth=1
	s_wait_xcnt 0x0
	s_or_b32 exec_lo, exec_lo, s0
	s_add_co_i32 s23, s1, s23
	s_delay_alu instid0(SALU_CYCLE_1)
	s_cmp_ge_i32 s23, s22
	s_cbranch_scc1 .LBB20_36
.LBB20_3:                               ; =>This Loop Header: Depth=1
                                        ;     Child Loop BB20_19 Depth 2
                                        ;       Child Loop BB20_24 Depth 3
	s_lshl_b32 s18, s23, 8
                                        ; implicit-def: $vgpr10_vgpr11
	s_mov_b32 s0, exec_lo
	v_add_nc_u32_e32 v6, s18, v0
	s_delay_alu instid0(VALU_DEP_1) | instskip(NEXT) | instid1(VALU_DEP_1)
	v_ashrrev_i32_e32 v7, 31, v6
	v_lshlrev_b64_e32 v[8:9], 6, v[6:7]
	s_delay_alu instid0(VALU_DEP_1) | instskip(NEXT) | instid1(VALU_DEP_1)
	v_mov_b32_e32 v3, v9
	v_cmpx_ne_u64_e32 0, v[2:3]
	s_xor_b32 s12, exec_lo, s0
	s_cbranch_execz .LBB20_5
; %bb.4:                                ;   in Loop: Header=BB20_3 Depth=1
	v_mul_u64_e32 v[10:11], s[16:17], v[4:5]
	v_mov_b32_e32 v15, v2
	s_delay_alu instid0(VALU_DEP_2) | instskip(SKIP_1) | instid1(VALU_DEP_4)
	v_mul_hi_u32 v13, v4, v11
	v_mul_lo_u32 v12, v4, v11
	v_mul_hi_u32 v14, v4, v10
	v_mul_lo_u32 v3, v5, v10
	v_mul_hi_u32 v16, v5, v10
	v_mul_hi_u32 v17, v5, v11
	v_mul_lo_u32 v10, v5, v11
	v_add_nc_u64_e32 v[12:13], v[14:15], v[12:13]
	s_delay_alu instid0(VALU_DEP_1) | instskip(NEXT) | instid1(VALU_DEP_2)
	v_add_co_u32 v3, vcc_lo, v12, v3
	v_add_co_ci_u32_e32 v14, vcc_lo, v13, v16, vcc_lo
	v_add_co_ci_u32_e32 v11, vcc_lo, 0, v17, vcc_lo
	v_mov_b32_e32 v17, v2
	s_delay_alu instid0(VALU_DEP_2) | instskip(NEXT) | instid1(VALU_DEP_1)
	v_add_nc_u64_e32 v[10:11], v[14:15], v[10:11]
	v_add_co_u32 v10, vcc_lo, v4, v10
	s_delay_alu instid0(VALU_DEP_1) | instskip(NEXT) | instid1(VALU_DEP_1)
	v_add_co_ci_u32_e64 v11, null, v5, v11, vcc_lo
	v_mul_u64_e32 v[12:13], s[16:17], v[10:11]
	s_delay_alu instid0(VALU_DEP_1) | instskip(SKIP_1) | instid1(VALU_DEP_3)
	v_mul_hi_u32 v15, v10, v13
	v_mul_lo_u32 v14, v10, v13
	v_mul_hi_u32 v16, v10, v12
	v_mul_lo_u32 v3, v11, v12
	v_mul_hi_u32 v18, v11, v12
	v_mul_hi_u32 v19, v11, v13
	v_mul_lo_u32 v12, v11, v13
	v_add_nc_u64_e32 v[14:15], v[16:17], v[14:15]
	s_delay_alu instid0(VALU_DEP_1) | instskip(NEXT) | instid1(VALU_DEP_2)
	v_add_co_u32 v3, vcc_lo, v14, v3
	v_add_co_ci_u32_e32 v16, vcc_lo, v15, v18, vcc_lo
	v_add_co_ci_u32_e32 v13, vcc_lo, 0, v19, vcc_lo
	v_mov_b32_e32 v15, v2
	s_delay_alu instid0(VALU_DEP_2) | instskip(SKIP_1) | instid1(VALU_DEP_2)
	v_add_nc_u64_e32 v[12:13], v[16:17], v[12:13]
	v_mov_b32_e32 v16, v8
	v_add_co_u32 v10, vcc_lo, v10, v12
	s_delay_alu instid0(VALU_DEP_1) | instskip(SKIP_2) | instid1(VALU_DEP_3)
	v_add_co_ci_u32_e64 v14, null, v11, v13, vcc_lo
	v_dual_mov_b32 v12, v9 :: v_dual_mov_b32 v13, v2
	v_mov_b32_e32 v11, v2
	v_mul_u64_e32 v[16:17], v[16:17], v[14:15]
	s_delay_alu instid0(VALU_DEP_2) | instskip(SKIP_2) | instid1(VALU_DEP_1)
	v_mul_u64_e32 v[18:19], v[12:13], v[10:11]
	v_mul_u64_e32 v[12:13], v[12:13], v[14:15]
	v_mul_hi_u32 v10, v8, v10
	v_add_nc_u64_e32 v[10:11], v[10:11], v[16:17]
	s_delay_alu instid0(VALU_DEP_1) | instskip(NEXT) | instid1(VALU_DEP_2)
	v_add_co_u32 v3, vcc_lo, v10, v18
	v_add_co_ci_u32_e32 v14, vcc_lo, v11, v19, vcc_lo
	v_add_co_ci_u32_e32 v13, vcc_lo, 0, v13, vcc_lo
	s_delay_alu instid0(VALU_DEP_1) | instskip(NEXT) | instid1(VALU_DEP_1)
	v_add_nc_u64_e32 v[10:11], v[14:15], v[12:13]
	v_mul_u64_e32 v[12:13], s[4:5], v[10:11]
	s_delay_alu instid0(VALU_DEP_1) | instskip(NEXT) | instid1(VALU_DEP_1)
	v_sub_co_u32 v3, vcc_lo, v8, v12
	v_sub_co_ci_u32_e64 v16, null, v9, v13, vcc_lo
	s_delay_alu instid0(VALU_DEP_2) | instskip(NEXT) | instid1(VALU_DEP_1)
	v_sub_co_u32 v12, vcc_lo, v3, s4
	v_subrev_co_ci_u32_e64 v14, null, 0, v16, vcc_lo
	v_cmp_eq_u32_e64 s0, 0, v16
	s_delay_alu instid0(VALU_DEP_3) | instskip(SKIP_3) | instid1(VALU_DEP_2)
	v_cmp_le_u32_e32 vcc_lo, s4, v12
	v_add_nc_u64_e32 v[12:13], 2, v[10:11]
	v_cndmask_b32_e64 v15, 0, -1, vcc_lo
	v_cmp_eq_u32_e32 vcc_lo, 0, v14
	v_cndmask_b32_e32 v17, -1, v15, vcc_lo
	v_cmp_le_u32_e32 vcc_lo, s4, v3
	v_add_nc_u64_e32 v[14:15], 1, v[10:11]
	v_cndmask_b32_e64 v3, 0, -1, vcc_lo
	s_delay_alu instid0(VALU_DEP_4) | instskip(NEXT) | instid1(VALU_DEP_2)
	v_cmp_ne_u32_e32 vcc_lo, 0, v17
	v_dual_cndmask_b32 v3, -1, v3, s0 :: v_dual_cndmask_b32 v13, v15, v13, vcc_lo
	s_delay_alu instid0(VALU_DEP_4) | instskip(NEXT) | instid1(VALU_DEP_2)
	v_cndmask_b32_e32 v12, v14, v12, vcc_lo
	v_cmp_ne_u32_e32 vcc_lo, 0, v3
	s_delay_alu instid0(VALU_DEP_2)
	v_dual_cndmask_b32 v11, v11, v13 :: v_dual_cndmask_b32 v10, v10, v12
.LBB20_5:                               ;   in Loop: Header=BB20_3 Depth=1
	s_or_saveexec_b32 s0, s12
	v_cvt_f32_u32_e32 v20, s4
	s_xor_b32 exec_lo, exec_lo, s0
	s_cbranch_execz .LBB20_7
; %bb.6:                                ;   in Loop: Header=BB20_3 Depth=1
	s_delay_alu instid0(VALU_DEP_1) | instskip(SKIP_1) | instid1(TRANS32_DEP_1)
	v_rcp_iflag_f32_e32 v3, v20
	v_nop
	v_mul_f32_e32 v3, 0x4f7ffffe, v3
	s_delay_alu instid0(VALU_DEP_1) | instskip(NEXT) | instid1(VALU_DEP_1)
	v_cvt_u32_f32_e32 v3, v3
	v_mul_lo_u32 v10, s24, v3
	s_delay_alu instid0(VALU_DEP_1) | instskip(NEXT) | instid1(VALU_DEP_1)
	v_mul_hi_u32 v10, v3, v10
	v_add_nc_u32_e32 v3, v3, v10
	s_delay_alu instid0(VALU_DEP_1) | instskip(NEXT) | instid1(VALU_DEP_1)
	v_mul_hi_u32 v3, v8, v3
	v_mul_lo_u32 v10, v3, s4
	s_delay_alu instid0(VALU_DEP_1) | instskip(NEXT) | instid1(VALU_DEP_1)
	v_dual_add_nc_u32 v11, 1, v3 :: v_dual_sub_nc_u32 v10, v8, v10
	v_subrev_nc_u32_e32 v12, s4, v10
	v_cmp_le_u32_e32 vcc_lo, s4, v10
	s_delay_alu instid0(VALU_DEP_2) | instskip(NEXT) | instid1(VALU_DEP_1)
	v_dual_cndmask_b32 v10, v10, v12 :: v_dual_cndmask_b32 v3, v3, v11
	v_cmp_le_u32_e32 vcc_lo, s4, v10
	s_delay_alu instid0(VALU_DEP_2) | instskip(NEXT) | instid1(VALU_DEP_1)
	v_add_nc_u32_e32 v11, 1, v3
	v_dual_cndmask_b32 v10, v3, v11 :: v_dual_mov_b32 v11, v2
.LBB20_7:                               ;   in Loop: Header=BB20_3 Depth=1
	s_or_b32 exec_lo, exec_lo, s0
	v_add_nc_u64_e32 v[12:13], 64, v[8:9]
                                        ; implicit-def: $vgpr14_vgpr15
	s_mov_b32 s0, exec_lo
	s_delay_alu instid0(VALU_DEP_1) | instskip(NEXT) | instid1(VALU_DEP_1)
	v_mov_b32_e32 v3, v13
	v_cmpx_ne_u64_e32 0, v[2:3]
	s_xor_b32 s12, exec_lo, s0
	s_cbranch_execz .LBB20_9
; %bb.8:                                ;   in Loop: Header=BB20_3 Depth=1
	v_mul_u64_e32 v[14:15], s[16:17], v[4:5]
	s_wait_dscnt 0x0
	v_dual_mov_b32 v19, v2 :: v_dual_mov_b32 v23, v2
	s_delay_alu instid0(VALU_DEP_2) | instskip(SKIP_1) | instid1(VALU_DEP_4)
	v_mul_hi_u32 v17, v4, v15
	v_mul_lo_u32 v16, v4, v15
	v_mul_hi_u32 v18, v4, v14
	v_mul_lo_u32 v3, v5, v14
	v_mul_hi_u32 v9, v5, v14
	v_mul_hi_u32 v21, v5, v15
	v_mul_lo_u32 v14, v5, v15
	v_add_nc_u64_e32 v[16:17], v[18:19], v[16:17]
	s_delay_alu instid0(VALU_DEP_1) | instskip(NEXT) | instid1(VALU_DEP_2)
	v_add_co_u32 v3, vcc_lo, v16, v3
	v_add_co_ci_u32_e32 v18, vcc_lo, v17, v9, vcc_lo
	v_add_co_ci_u32_e32 v15, vcc_lo, 0, v21, vcc_lo
	s_delay_alu instid0(VALU_DEP_1) | instskip(NEXT) | instid1(VALU_DEP_1)
	v_add_nc_u64_e32 v[14:15], v[18:19], v[14:15]
	v_add_co_u32 v14, vcc_lo, v4, v14
	s_delay_alu instid0(VALU_DEP_1) | instskip(NEXT) | instid1(VALU_DEP_1)
	v_add_co_ci_u32_e64 v15, null, v5, v15, vcc_lo
	v_mul_u64_e32 v[16:17], s[16:17], v[14:15]
	s_delay_alu instid0(VALU_DEP_1) | instskip(SKIP_1) | instid1(VALU_DEP_3)
	v_mul_hi_u32 v19, v14, v17
	v_mul_lo_u32 v18, v14, v17
	v_mul_hi_u32 v22, v14, v16
	v_mul_lo_u32 v3, v15, v16
	v_mul_hi_u32 v9, v15, v16
	v_mul_hi_u32 v21, v15, v17
	v_mul_lo_u32 v16, v15, v17
	v_add_nc_u64_e32 v[18:19], v[22:23], v[18:19]
	s_delay_alu instid0(VALU_DEP_1) | instskip(NEXT) | instid1(VALU_DEP_2)
	v_add_co_u32 v3, vcc_lo, v18, v3
	v_add_co_ci_u32_e32 v22, vcc_lo, v19, v9, vcc_lo
	v_add_co_ci_u32_e32 v17, vcc_lo, 0, v21, vcc_lo
	v_mov_b32_e32 v19, v2
	s_delay_alu instid0(VALU_DEP_2) | instskip(SKIP_1) | instid1(VALU_DEP_2)
	v_add_nc_u64_e32 v[16:17], v[22:23], v[16:17]
	v_mov_b32_e32 v22, v12
	v_add_co_u32 v14, vcc_lo, v14, v16
	s_delay_alu instid0(VALU_DEP_1) | instskip(SKIP_2) | instid1(VALU_DEP_3)
	v_add_co_ci_u32_e64 v18, null, v15, v17, vcc_lo
	v_dual_mov_b32 v16, v13 :: v_dual_mov_b32 v17, v2
	v_mov_b32_e32 v15, v2
	v_mul_u64_e32 v[22:23], v[22:23], v[18:19]
	s_delay_alu instid0(VALU_DEP_2) | instskip(SKIP_2) | instid1(VALU_DEP_1)
	v_mul_u64_e32 v[26:27], v[16:17], v[14:15]
	v_mul_u64_e32 v[16:17], v[16:17], v[18:19]
	v_mul_hi_u32 v14, v12, v14
	v_add_nc_u64_e32 v[14:15], v[14:15], v[22:23]
	s_delay_alu instid0(VALU_DEP_1) | instskip(NEXT) | instid1(VALU_DEP_2)
	v_add_co_u32 v3, vcc_lo, v14, v26
	v_add_co_ci_u32_e32 v18, vcc_lo, v15, v27, vcc_lo
	v_add_co_ci_u32_e32 v17, vcc_lo, 0, v17, vcc_lo
	s_delay_alu instid0(VALU_DEP_1) | instskip(NEXT) | instid1(VALU_DEP_1)
	v_add_nc_u64_e32 v[14:15], v[18:19], v[16:17]
	v_mul_u64_e32 v[16:17], s[4:5], v[14:15]
	s_delay_alu instid0(VALU_DEP_1) | instskip(NEXT) | instid1(VALU_DEP_1)
	v_sub_co_u32 v3, vcc_lo, v12, v16
	v_sub_co_ci_u32_e64 v9, null, v13, v17, vcc_lo
	s_delay_alu instid0(VALU_DEP_2) | instskip(NEXT) | instid1(VALU_DEP_1)
	v_sub_co_u32 v16, vcc_lo, v3, s4
	v_subrev_co_ci_u32_e64 v18, null, 0, v9, vcc_lo
	v_cmp_eq_u32_e64 s0, 0, v9
	s_delay_alu instid0(VALU_DEP_3) | instskip(SKIP_3) | instid1(VALU_DEP_2)
	v_cmp_le_u32_e32 vcc_lo, s4, v16
	v_add_nc_u64_e32 v[16:17], 2, v[14:15]
	v_cndmask_b32_e64 v19, 0, -1, vcc_lo
	v_cmp_eq_u32_e32 vcc_lo, 0, v18
	v_cndmask_b32_e32 v21, -1, v19, vcc_lo
	v_cmp_le_u32_e32 vcc_lo, s4, v3
	v_add_nc_u64_e32 v[18:19], 1, v[14:15]
	v_cndmask_b32_e64 v3, 0, -1, vcc_lo
	s_delay_alu instid0(VALU_DEP_4) | instskip(NEXT) | instid1(VALU_DEP_2)
	v_cmp_ne_u32_e32 vcc_lo, 0, v21
	v_dual_cndmask_b32 v3, -1, v3, s0 :: v_dual_cndmask_b32 v9, v19, v17, vcc_lo
	s_delay_alu instid0(VALU_DEP_4) | instskip(NEXT) | instid1(VALU_DEP_2)
	v_cndmask_b32_e32 v16, v18, v16, vcc_lo
	v_cmp_ne_u32_e32 vcc_lo, 0, v3
	s_delay_alu instid0(VALU_DEP_2)
	v_dual_cndmask_b32 v15, v15, v9 :: v_dual_cndmask_b32 v14, v14, v16
.LBB20_9:                               ;   in Loop: Header=BB20_3 Depth=1
	s_and_not1_saveexec_b32 s0, s12
	s_cbranch_execz .LBB20_11
; %bb.10:                               ;   in Loop: Header=BB20_3 Depth=1
	v_rcp_iflag_f32_e32 v3, v20
	v_nop
	s_delay_alu instid0(TRANS32_DEP_1) | instskip(NEXT) | instid1(VALU_DEP_1)
	v_mul_f32_e32 v3, 0x4f7ffffe, v3
	v_cvt_u32_f32_e32 v3, v3
	s_delay_alu instid0(VALU_DEP_1) | instskip(NEXT) | instid1(VALU_DEP_1)
	v_mul_lo_u32 v9, s24, v3
	v_mul_hi_u32 v9, v3, v9
	s_delay_alu instid0(VALU_DEP_1) | instskip(NEXT) | instid1(VALU_DEP_1)
	v_add_nc_u32_e32 v3, v3, v9
	v_mul_hi_u32 v3, v12, v3
	s_delay_alu instid0(VALU_DEP_1) | instskip(NEXT) | instid1(VALU_DEP_1)
	v_mul_lo_u32 v9, v3, s4
	v_dual_add_nc_u32 v14, 1, v3 :: v_dual_sub_nc_u32 v9, v12, v9
	s_delay_alu instid0(VALU_DEP_1) | instskip(SKIP_1) | instid1(VALU_DEP_2)
	v_subrev_nc_u32_e32 v15, s4, v9
	v_cmp_le_u32_e32 vcc_lo, s4, v9
	v_dual_cndmask_b32 v9, v9, v15, vcc_lo :: v_dual_mov_b32 v15, v2
	s_delay_alu instid0(VALU_DEP_4) | instskip(NEXT) | instid1(VALU_DEP_2)
	v_cndmask_b32_e32 v3, v3, v14, vcc_lo
	v_cmp_le_u32_e32 vcc_lo, s4, v9
	s_delay_alu instid0(VALU_DEP_2) | instskip(NEXT) | instid1(VALU_DEP_1)
	v_add_nc_u32_e32 v14, 1, v3
	v_cndmask_b32_e32 v14, v3, v14, vcc_lo
.LBB20_11:                              ;   in Loop: Header=BB20_3 Depth=1
	s_or_b32 exec_lo, exec_lo, s0
	s_ashr_i32 s19, s18, 31
	s_delay_alu instid0(SALU_CYCLE_1) | instskip(NEXT) | instid1(SALU_CYCLE_1)
	s_lshl_b64 s[20:21], s[18:19], 6
	s_and_b64 s[26:27], s[20:21], 0xffffffff00000000
	s_delay_alu instid0(SALU_CYCLE_1)
	s_cmp_lg_u64 s[26:27], 0
	s_cbranch_scc0 .LBB20_34
; %bb.12:                               ;   in Loop: Header=BB20_3 Depth=1
	v_mul_u64_e32 v[16:17], s[16:17], v[4:5]
	s_wait_dscnt 0x0
	v_dual_mov_b32 v23, v2 :: v_dual_mov_b32 v27, v2
	s_delay_alu instid0(VALU_DEP_2) | instskip(SKIP_1) | instid1(VALU_DEP_4)
	v_mul_hi_u32 v19, v4, v17
	v_mul_lo_u32 v18, v4, v17
	v_mul_hi_u32 v22, v4, v16
	v_mul_lo_u32 v3, v5, v16
	v_mul_hi_u32 v9, v5, v16
	v_mul_hi_u32 v21, v5, v17
	v_mul_lo_u32 v16, v5, v17
	v_add_nc_u64_e32 v[18:19], v[22:23], v[18:19]
	s_delay_alu instid0(VALU_DEP_1) | instskip(NEXT) | instid1(VALU_DEP_2)
	v_add_co_u32 v3, vcc_lo, v18, v3
	v_add_co_ci_u32_e32 v22, vcc_lo, v19, v9, vcc_lo
	v_add_co_ci_u32_e32 v17, vcc_lo, 0, v21, vcc_lo
	s_delay_alu instid0(VALU_DEP_1) | instskip(NEXT) | instid1(VALU_DEP_1)
	v_add_nc_u64_e32 v[16:17], v[22:23], v[16:17]
	v_add_co_u32 v16, vcc_lo, v4, v16
	s_delay_alu instid0(VALU_DEP_1) | instskip(NEXT) | instid1(VALU_DEP_1)
	v_add_co_ci_u32_e64 v17, null, v5, v17, vcc_lo
	v_mul_u64_e32 v[18:19], s[16:17], v[16:17]
	s_delay_alu instid0(VALU_DEP_1) | instskip(SKIP_1) | instid1(VALU_DEP_3)
	v_mul_hi_u32 v23, v16, v19
	v_mul_lo_u32 v22, v16, v19
	v_mul_hi_u32 v26, v16, v18
	v_mul_lo_u32 v3, v17, v18
	v_mul_hi_u32 v9, v17, v18
	v_mul_hi_u32 v21, v17, v19
	v_mul_lo_u32 v18, v17, v19
	v_add_nc_u64_e32 v[22:23], v[26:27], v[22:23]
	s_delay_alu instid0(VALU_DEP_1) | instskip(NEXT) | instid1(VALU_DEP_2)
	v_add_co_u32 v3, vcc_lo, v22, v3
	v_add_co_ci_u32_e32 v26, vcc_lo, v23, v9, vcc_lo
	v_add_co_ci_u32_e32 v19, vcc_lo, 0, v21, vcc_lo
	s_delay_alu instid0(VALU_DEP_1) | instskip(NEXT) | instid1(VALU_DEP_1)
	v_add_nc_u64_e32 v[18:19], v[26:27], v[18:19]
	v_add_co_u32 v3, vcc_lo, v16, v18
	s_delay_alu instid0(VALU_DEP_1) | instskip(SKIP_1) | instid1(VALU_DEP_3)
	v_add_co_ci_u32_e64 v9, null, v17, v19, vcc_lo
	v_mov_b32_e32 v19, v2
	v_mul_hi_u32 v18, s20, v3
	v_mul_lo_u32 v21, s21, v3
	s_delay_alu instid0(VALU_DEP_4) | instskip(SKIP_4) | instid1(VALU_DEP_4)
	v_mul_hi_u32 v17, s20, v9
	v_mul_lo_u32 v16, s20, v9
	v_mul_hi_u32 v3, s21, v3
	v_mul_hi_u32 v23, s21, v9
	v_mul_lo_u32 v22, s21, v9
	v_add_nc_u64_e32 v[16:17], v[18:19], v[16:17]
	s_delay_alu instid0(VALU_DEP_1) | instskip(NEXT) | instid1(VALU_DEP_2)
	v_add_co_u32 v9, vcc_lo, v16, v21
	v_add_co_ci_u32_e32 v18, vcc_lo, v17, v3, vcc_lo
	v_add_co_ci_u32_e32 v23, vcc_lo, 0, v23, vcc_lo
	s_delay_alu instid0(VALU_DEP_1) | instskip(NEXT) | instid1(VALU_DEP_1)
	v_add_nc_u64_e32 v[16:17], v[18:19], v[22:23]
	v_mul_u64_e32 v[18:19], s[4:5], v[16:17]
	s_delay_alu instid0(VALU_DEP_1) | instskip(NEXT) | instid1(VALU_DEP_1)
	v_sub_co_u32 v3, vcc_lo, s20, v18
	v_sub_co_ci_u32_e64 v9, null, s21, v19, vcc_lo
	s_delay_alu instid0(VALU_DEP_2) | instskip(NEXT) | instid1(VALU_DEP_1)
	v_sub_co_u32 v18, vcc_lo, v3, s4
	v_subrev_co_ci_u32_e64 v21, null, 0, v9, vcc_lo
	v_cmp_eq_u32_e64 s0, 0, v9
	s_delay_alu instid0(VALU_DEP_3) | instskip(SKIP_3) | instid1(VALU_DEP_2)
	v_cmp_le_u32_e32 vcc_lo, s4, v18
	v_add_nc_u64_e32 v[18:19], 1, v[16:17]
	v_cndmask_b32_e64 v22, 0, -1, vcc_lo
	v_cmp_eq_u32_e32 vcc_lo, 0, v21
	v_cndmask_b32_e32 v21, -1, v22, vcc_lo
	v_cmp_le_u32_e32 vcc_lo, s4, v3
	v_add_nc_u64_e32 v[22:23], 2, v[16:17]
	v_cndmask_b32_e64 v3, 0, -1, vcc_lo
	s_delay_alu instid0(VALU_DEP_4) | instskip(NEXT) | instid1(VALU_DEP_2)
	v_cmp_ne_u32_e32 vcc_lo, 0, v21
	v_dual_cndmask_b32 v3, -1, v3, s0 :: v_dual_cndmask_b32 v9, v18, v22, vcc_lo
	s_delay_alu instid0(VALU_DEP_4) | instskip(NEXT) | instid1(VALU_DEP_2)
	v_cndmask_b32_e32 v18, v19, v23, vcc_lo
	v_cmp_ne_u32_e32 vcc_lo, 0, v3
	s_delay_alu instid0(VALU_DEP_2)
	v_dual_cndmask_b32 v16, v16, v9 :: v_dual_cndmask_b32 v17, v17, v18
	s_cbranch_execnz .LBB20_14
.LBB20_13:                              ;   in Loop: Header=BB20_3 Depth=1
	v_rcp_iflag_f32_e32 v3, v20
	v_nop
	s_delay_alu instid0(TRANS32_DEP_1) | instskip(NEXT) | instid1(VALU_DEP_1)
	v_mul_f32_e32 v3, 0x4f7ffffe, v3
	v_cvt_u32_f32_e32 v3, v3
	s_delay_alu instid0(VALU_DEP_1) | instskip(SKIP_1) | instid1(SALU_CYCLE_1)
	v_readfirstlane_b32 s0, v3
	s_mul_i32 s12, s24, s0
	s_mul_hi_u32 s12, s0, s12
	s_delay_alu instid0(SALU_CYCLE_1) | instskip(NEXT) | instid1(SALU_CYCLE_1)
	s_add_co_i32 s0, s0, s12
	s_mul_hi_u32 s0, s20, s0
	s_delay_alu instid0(SALU_CYCLE_1) | instskip(SKIP_2) | instid1(SALU_CYCLE_1)
	s_mul_i32 s12, s0, s4
	s_add_co_i32 s19, s0, 1
	s_sub_co_i32 s12, s20, s12
	s_sub_co_i32 s20, s12, s4
	s_cmp_ge_u32 s12, s4
	s_cselect_b32 s0, s19, s0
	s_cselect_b32 s12, s20, s12
	s_add_co_i32 s19, s0, 1
	s_cmp_ge_u32 s12, s4
	s_cselect_b32 s12, s19, s0
	s_delay_alu instid0(SALU_CYCLE_1)
	v_mov_b64_e32 v[16:17], s[12:13]
.LBB20_14:                              ;   in Loop: Header=BB20_3 Depth=1
	s_addk_co_i32 s18, 0x100
	s_delay_alu instid0(SALU_CYCLE_1) | instskip(NEXT) | instid1(SALU_CYCLE_1)
	s_ashr_i32 s19, s18, 31
	s_lshl_b64 s[18:19], s[18:19], 6
	s_delay_alu instid0(SALU_CYCLE_1) | instskip(NEXT) | instid1(SALU_CYCLE_1)
	s_and_b64 s[20:21], s[18:19], 0xffffffff00000000
	s_cmp_lg_u64 s[20:21], 0
	s_cbranch_scc0 .LBB20_35
; %bb.15:                               ;   in Loop: Header=BB20_3 Depth=1
	v_mul_u64_e32 v[18:19], s[16:17], v[4:5]
	v_dual_mov_b32 v27, v2 :: v_dual_mov_b32 v29, v2
	s_wait_dscnt 0x0
	s_delay_alu instid0(VALU_DEP_2) | instskip(SKIP_1) | instid1(VALU_DEP_4)
	v_mul_hi_u32 v23, v4, v19
	v_mul_lo_u32 v22, v4, v19
	v_mul_hi_u32 v26, v4, v18
	v_mul_lo_u32 v3, v5, v18
	v_mul_hi_u32 v9, v5, v18
	v_mul_hi_u32 v21, v5, v19
	v_mul_lo_u32 v18, v5, v19
	v_add_nc_u64_e32 v[22:23], v[26:27], v[22:23]
	s_delay_alu instid0(VALU_DEP_1) | instskip(NEXT) | instid1(VALU_DEP_2)
	v_add_co_u32 v3, vcc_lo, v22, v3
	v_add_co_ci_u32_e32 v26, vcc_lo, v23, v9, vcc_lo
	v_add_co_ci_u32_e32 v19, vcc_lo, 0, v21, vcc_lo
	s_delay_alu instid0(VALU_DEP_1) | instskip(NEXT) | instid1(VALU_DEP_1)
	v_add_nc_u64_e32 v[18:19], v[26:27], v[18:19]
	v_add_co_u32 v18, vcc_lo, v4, v18
	s_delay_alu instid0(VALU_DEP_1) | instskip(NEXT) | instid1(VALU_DEP_1)
	v_add_co_ci_u32_e64 v19, null, v5, v19, vcc_lo
	v_mul_u64_e32 v[22:23], s[16:17], v[18:19]
	s_delay_alu instid0(VALU_DEP_1) | instskip(SKIP_1) | instid1(VALU_DEP_3)
	v_mul_hi_u32 v27, v18, v23
	v_mul_lo_u32 v26, v18, v23
	v_mul_hi_u32 v28, v18, v22
	v_mul_lo_u32 v3, v19, v22
	v_mul_hi_u32 v9, v19, v22
	v_mul_hi_u32 v21, v19, v23
	v_mul_lo_u32 v22, v19, v23
	v_add_nc_u64_e32 v[26:27], v[28:29], v[26:27]
	s_delay_alu instid0(VALU_DEP_1) | instskip(NEXT) | instid1(VALU_DEP_2)
	v_add_co_u32 v3, vcc_lo, v26, v3
	v_add_co_ci_u32_e32 v28, vcc_lo, v27, v9, vcc_lo
	v_add_co_ci_u32_e32 v23, vcc_lo, 0, v21, vcc_lo
	s_delay_alu instid0(VALU_DEP_1) | instskip(NEXT) | instid1(VALU_DEP_1)
	v_add_nc_u64_e32 v[22:23], v[28:29], v[22:23]
	v_add_co_u32 v3, vcc_lo, v18, v22
	s_delay_alu instid0(VALU_DEP_1) | instskip(SKIP_1) | instid1(VALU_DEP_3)
	v_add_co_ci_u32_e64 v9, null, v19, v23, vcc_lo
	v_mov_b32_e32 v23, v2
	v_mul_hi_u32 v22, s18, v3
	v_mul_lo_u32 v21, s19, v3
	s_delay_alu instid0(VALU_DEP_4) | instskip(SKIP_4) | instid1(VALU_DEP_4)
	v_mul_hi_u32 v19, s18, v9
	v_mul_lo_u32 v18, s18, v9
	v_mul_hi_u32 v3, s19, v3
	v_mul_hi_u32 v25, s19, v9
	v_mul_lo_u32 v26, s19, v9
	v_add_nc_u64_e32 v[18:19], v[22:23], v[18:19]
	s_delay_alu instid0(VALU_DEP_1) | instskip(NEXT) | instid1(VALU_DEP_2)
	v_add_co_u32 v9, vcc_lo, v18, v21
	v_add_co_ci_u32_e32 v22, vcc_lo, v19, v3, vcc_lo
	v_add_co_ci_u32_e32 v27, vcc_lo, 0, v25, vcc_lo
	s_delay_alu instid0(VALU_DEP_1) | instskip(NEXT) | instid1(VALU_DEP_1)
	v_add_nc_u64_e32 v[18:19], v[22:23], v[26:27]
	v_mul_u64_e32 v[22:23], s[4:5], v[18:19]
	v_add_nc_u64_e32 v[26:27], 2, v[18:19]
	s_delay_alu instid0(VALU_DEP_2) | instskip(NEXT) | instid1(VALU_DEP_1)
	v_sub_co_u32 v3, vcc_lo, s18, v22
	v_sub_co_ci_u32_e64 v9, null, s19, v23, vcc_lo
	v_add_nc_u64_e32 v[22:23], 1, v[18:19]
	s_delay_alu instid0(VALU_DEP_3) | instskip(NEXT) | instid1(VALU_DEP_1)
	v_sub_co_u32 v21, vcc_lo, v3, s4
	v_subrev_co_ci_u32_e64 v25, null, 0, v9, vcc_lo
	v_cmp_eq_u32_e64 s0, 0, v9
	s_delay_alu instid0(VALU_DEP_3) | instskip(SKIP_1) | instid1(VALU_DEP_4)
	v_cmp_le_u32_e32 vcc_lo, s4, v21
	v_cndmask_b32_e64 v21, 0, -1, vcc_lo
	v_cmp_eq_u32_e32 vcc_lo, 0, v25
	s_delay_alu instid0(VALU_DEP_2) | instskip(SKIP_2) | instid1(VALU_DEP_3)
	v_cndmask_b32_e32 v21, -1, v21, vcc_lo
	v_cmp_le_u32_e32 vcc_lo, s4, v3
	v_cndmask_b32_e64 v3, 0, -1, vcc_lo
	v_cmp_ne_u32_e32 vcc_lo, 0, v21
	s_delay_alu instid0(VALU_DEP_2) | instskip(SKIP_1) | instid1(VALU_DEP_2)
	v_dual_cndmask_b32 v3, -1, v3, s0 :: v_dual_cndmask_b32 v9, v22, v26, vcc_lo
	v_cndmask_b32_e32 v21, v23, v27, vcc_lo
	v_cmp_ne_u32_e32 vcc_lo, 0, v3
	s_delay_alu instid0(VALU_DEP_3) | instskip(NEXT) | instid1(VALU_DEP_3)
	v_cndmask_b32_e32 v18, v18, v9, vcc_lo
	v_cndmask_b32_e32 v19, v19, v21, vcc_lo
	s_cbranch_execnz .LBB20_17
.LBB20_16:                              ;   in Loop: Header=BB20_3 Depth=1
	v_rcp_iflag_f32_e32 v3, v20
	v_nop
	s_delay_alu instid0(TRANS32_DEP_1) | instskip(NEXT) | instid1(VALU_DEP_1)
	v_mul_f32_e32 v3, 0x4f7ffffe, v3
	v_cvt_u32_f32_e32 v3, v3
	s_delay_alu instid0(VALU_DEP_1) | instskip(SKIP_1) | instid1(SALU_CYCLE_1)
	v_readfirstlane_b32 s0, v3
	s_mul_i32 s12, s24, s0
	s_mul_hi_u32 s12, s0, s12
	s_delay_alu instid0(SALU_CYCLE_1) | instskip(NEXT) | instid1(SALU_CYCLE_1)
	s_add_co_i32 s0, s0, s12
	s_mul_hi_u32 s0, s18, s0
	s_delay_alu instid0(SALU_CYCLE_1) | instskip(SKIP_2) | instid1(SALU_CYCLE_1)
	s_mul_i32 s12, s0, s4
	s_add_co_i32 s20, s0, 1
	s_sub_co_i32 s12, s18, s12
	s_sub_co_i32 s21, s12, s4
	s_cmp_ge_u32 s12, s4
	s_cselect_b32 s0, s20, s0
	s_cselect_b32 s12, s21, s12
	s_add_co_i32 s20, s0, 1
	s_cmp_ge_u32 s12, s4
	s_cselect_b32 s12, s20, s0
	s_delay_alu instid0(SALU_CYCLE_1)
	v_mov_b64_e32 v[18:19], s[12:13]
.LBB20_17:                              ;   in Loop: Header=BB20_3 Depth=1
	s_delay_alu instid0(VALU_DEP_1) | instskip(SKIP_4) | instid1(VALU_DEP_4)
	v_mul_u64_e32 v[20:21], s[4:5], v[18:19]
	s_wait_dscnt 0x0
	v_mov_b32_e32 v23, s13
	v_and_b32_e32 v16, 0xffffff00, v16
	v_min_u64 v[10:11], s[14:15], v[10:11]
	v_sub_nc_u64_e32 v[20:21], s[18:19], v[20:21]
	s_delay_alu instid0(VALU_DEP_1) | instskip(SKIP_2) | instid1(VALU_DEP_1)
	v_cmp_ne_u64_e32 vcc_lo, 0, v[20:21]
	v_mov_b32_e32 v21, v2
	v_cndmask_b32_e64 v22, 0, 1, vcc_lo
	v_add_nc_u64_e32 v[18:19], v[18:19], v[22:23]
	s_delay_alu instid0(VALU_DEP_1) | instskip(NEXT) | instid1(VALU_DEP_1)
	v_and_b32_e32 v20, 0xff, v18
	v_cmp_eq_u64_e32 vcc_lo, 0, v[20:21]
	v_cndmask_b32_e64 v20, 0x100, 0, vcc_lo
	s_delay_alu instid0(VALU_DEP_1) | instskip(SKIP_2) | instid1(VALU_DEP_3)
	v_add_nc_u64_e32 v[18:19], v[20:21], v[18:19]
	v_min_u64 v[20:21], s[14:15], v[16:17]
	v_mov_b64_e32 v[16:17], 0
	v_and_b32_e32 v18, 0xffffff00, v18
	s_delay_alu instid0(VALU_DEP_1) | instskip(NEXT) | instid1(VALU_DEP_1)
	v_min_u64 v[18:19], s[14:15], v[18:19]
	v_cmp_ge_i32_e32 vcc_lo, v20, v18
	s_cbranch_vccnz .LBB20_32
; %bb.18:                               ;   in Loop: Header=BB20_3 Depth=1
	v_mul_u64_e32 v[16:17], s[4:5], v[14:15]
	s_delay_alu instid0(VALU_DEP_1) | instskip(SKIP_1) | instid1(VALU_DEP_2)
	v_sub_nc_u64_e32 v[12:13], v[12:13], v[16:17]
	v_mov_b64_e32 v[16:17], 0
	v_cmp_ne_u64_e32 vcc_lo, 0, v[12:13]
	v_mov_b32_e32 v13, s13
	v_cndmask_b32_e64 v12, 0, 1, vcc_lo
	s_delay_alu instid0(VALU_DEP_1) | instskip(NEXT) | instid1(VALU_DEP_1)
	v_add_nc_u64_e32 v[12:13], v[14:15], v[12:13]
	v_min_u64 v[12:13], s[14:15], v[12:13]
.LBB20_19:                              ;   Parent Loop BB20_3 Depth=1
                                        ; =>  This Loop Header: Depth=2
                                        ;       Child Loop BB20_24 Depth 3
	s_delay_alu instid0(VALU_DEP_1) | instskip(SKIP_3) | instid1(VALU_DEP_1)
	v_add_nc_u32_e32 v14, v20, v0
	s_mov_b32 s0, exec_lo
	s_barrier_signal -1
	s_barrier_wait -1
	v_ashrrev_i32_e32 v15, 31, v14
	s_delay_alu instid0(VALU_DEP_1)
	v_cmpx_gt_u64_e64 s[2:3], v[14:15]
	s_cbranch_execz .LBB20_21
; %bb.20:                               ;   in Loop: Header=BB20_19 Depth=2
	v_lshl_add_u64 v[14:15], v[14:15], 3, s[10:11]
	global_load_b64 v[14:15], v[14:15], off
	s_wait_loadcnt 0x0
	s_wait_kmcnt 0x0
	s_wait_xcnt 0x0
	v_sub_nc_u64_e64 v[14:15], v[14:15], s[6:7]
	ds_store_b64 v1, v[14:15]
.LBB20_21:                              ;   in Loop: Header=BB20_19 Depth=2
	s_or_b32 exec_lo, exec_lo, s0
	v_add_nc_u32_e32 v3, 0x100, v20
	v_max_i32_e32 v9, v10, v20
	s_mov_b32 s0, exec_lo
	s_wait_dscnt 0x0
	s_barrier_signal -1
	v_min_i32_e32 v11, v12, v3
	s_barrier_wait -1
	s_delay_alu instid0(VALU_DEP_1)
	v_cmpx_lt_i32_e64 v9, v11
	s_cbranch_execz .LBB20_29
; %bb.22:                               ;   in Loop: Header=BB20_19 Depth=2
	s_mov_b32 s12, 0
	s_branch .LBB20_24
.LBB20_23:                              ;   in Loop: Header=BB20_24 Depth=3
	s_or_b32 exec_lo, exec_lo, s18
	s_delay_alu instid0(VALU_DEP_1) | instskip(NEXT) | instid1(VALU_DEP_2)
	v_dual_add_nc_u32 v9, 1, v9 :: v_dual_bitop2_b32 v16, v14, v16 bitop3:0x54
	v_or_b32_e32 v17, v15, v17
	s_delay_alu instid0(VALU_DEP_2) | instskip(SKIP_1) | instid1(SALU_CYCLE_1)
	v_cmp_ge_i32_e32 vcc_lo, v9, v11
	s_or_b32 s12, vcc_lo, s12
	s_and_not1_b32 exec_lo, exec_lo, s12
	s_cbranch_execz .LBB20_28
.LBB20_24:                              ;   Parent Loop BB20_3 Depth=1
                                        ;     Parent Loop BB20_19 Depth=2
                                        ; =>    This Inner Loop Header: Depth=3
	v_sub_nc_u32_e32 v13, v9, v20
	v_mul_lo_u32 v14, v9, v24
	s_mov_b32 s18, exec_lo
	s_delay_alu instid0(VALU_DEP_2) | instskip(SKIP_3) | instid1(VALU_DEP_1)
	v_lshlrev_b32_e32 v13, 3, v13
	s_wait_dscnt 0x0
	ds_load_b64 v[22:23], v13
	v_sub_nc_u32_e32 v13, v14, v8
                                        ; implicit-def: $vgpr14_vgpr15
	v_cmpx_gt_i32_e32 1, v13
	s_xor_b32 s18, exec_lo, s18
	s_cbranch_execz .LBB20_26
; %bb.25:                               ;   in Loop: Header=BB20_24 Depth=3
	v_sub_nc_u32_e32 v13, 0, v13
	s_wait_dscnt 0x0
	s_delay_alu instid0(VALU_DEP_1)
	v_lshrrev_b64 v[14:15], v13, v[22:23]
                                        ; implicit-def: $vgpr13
                                        ; implicit-def: $vgpr22_vgpr23
.LBB20_26:                              ;   in Loop: Header=BB20_24 Depth=3
	s_and_not1_saveexec_b32 s18, s18
	s_cbranch_execz .LBB20_23
; %bb.27:                               ;   in Loop: Header=BB20_24 Depth=3
	s_wait_dscnt 0x0
	v_lshlrev_b64_e32 v[14:15], v13, v[22:23]
	s_branch .LBB20_23
.LBB20_28:                              ;   in Loop: Header=BB20_19 Depth=2
	s_or_b32 exec_lo, exec_lo, s12
.LBB20_29:                              ;   in Loop: Header=BB20_19 Depth=2
	s_delay_alu instid0(SALU_CYCLE_1)
	s_or_b32 exec_lo, exec_lo, s0
; %bb.30:                               ;   in Loop: Header=BB20_19 Depth=2
	v_cmp_lt_i32_e32 vcc_lo, v3, v18
	s_cbranch_vccz .LBB20_32
; %bb.31:                               ;   in Loop: Header=BB20_19 Depth=2
	v_mov_b32_e32 v20, v3
	s_branch .LBB20_19
.LBB20_32:                              ;   in Loop: Header=BB20_3 Depth=1
	v_ashrrev_i32_e32 v11, 31, v10
	s_mov_b32 s0, exec_lo
	s_delay_alu instid0(VALU_DEP_1)
	v_cmpx_gt_u64_e64 s[2:3], v[10:11]
	s_cbranch_execz .LBB20_2
; %bb.33:                               ;   in Loop: Header=BB20_3 Depth=1
	v_lshl_add_u64 v[6:7], v[6:7], 3, s[8:9]
	global_store_b64 v[6:7], v[16:17], off
	s_branch .LBB20_2
.LBB20_34:                              ;   in Loop: Header=BB20_3 Depth=1
                                        ; implicit-def: $vgpr16_vgpr17
	s_branch .LBB20_13
.LBB20_35:                              ;   in Loop: Header=BB20_3 Depth=1
                                        ; implicit-def: $vgpr18_vgpr19
	s_branch .LBB20_16
.LBB20_36:
	s_endpgm
	.section	.rodata,"a",@progbits
	.p2align	6, 0x0
	.amdhsa_kernel _Z13bitPackKernelIxmEvPKhPKT_PT0_S4_PKm
		.amdhsa_group_segment_fixed_size 2048
		.amdhsa_private_segment_fixed_size 0
		.amdhsa_kernarg_size 296
		.amdhsa_user_sgpr_count 2
		.amdhsa_user_sgpr_dispatch_ptr 0
		.amdhsa_user_sgpr_queue_ptr 0
		.amdhsa_user_sgpr_kernarg_segment_ptr 1
		.amdhsa_user_sgpr_dispatch_id 0
		.amdhsa_user_sgpr_kernarg_preload_length 0
		.amdhsa_user_sgpr_kernarg_preload_offset 0
		.amdhsa_user_sgpr_private_segment_size 0
		.amdhsa_wavefront_size32 1
		.amdhsa_uses_dynamic_stack 0
		.amdhsa_enable_private_segment 0
		.amdhsa_system_sgpr_workgroup_id_x 1
		.amdhsa_system_sgpr_workgroup_id_y 0
		.amdhsa_system_sgpr_workgroup_id_z 0
		.amdhsa_system_sgpr_workgroup_info 0
		.amdhsa_system_vgpr_workitem_id 0
		.amdhsa_next_free_vgpr 30
		.amdhsa_next_free_sgpr 28
		.amdhsa_named_barrier_count 0
		.amdhsa_reserve_vcc 1
		.amdhsa_float_round_mode_32 0
		.amdhsa_float_round_mode_16_64 0
		.amdhsa_float_denorm_mode_32 3
		.amdhsa_float_denorm_mode_16_64 3
		.amdhsa_fp16_overflow 0
		.amdhsa_memory_ordered 1
		.amdhsa_forward_progress 1
		.amdhsa_inst_pref_size 27
		.amdhsa_round_robin_scheduling 0
		.amdhsa_exception_fp_ieee_invalid_op 0
		.amdhsa_exception_fp_denorm_src 0
		.amdhsa_exception_fp_ieee_div_zero 0
		.amdhsa_exception_fp_ieee_overflow 0
		.amdhsa_exception_fp_ieee_underflow 0
		.amdhsa_exception_fp_ieee_inexact 0
		.amdhsa_exception_int_div_zero 0
	.end_amdhsa_kernel
	.section	.text._Z13bitPackKernelIxmEvPKhPKT_PT0_S4_PKm,"axG",@progbits,_Z13bitPackKernelIxmEvPKhPKT_PT0_S4_PKm,comdat
.Lfunc_end20:
	.size	_Z13bitPackKernelIxmEvPKhPKT_PT0_S4_PKm, .Lfunc_end20-_Z13bitPackKernelIxmEvPKhPKT_PT0_S4_PKm
                                        ; -- End function
	.set _Z13bitPackKernelIxmEvPKhPKT_PT0_S4_PKm.num_vgpr, 30
	.set _Z13bitPackKernelIxmEvPKhPKT_PT0_S4_PKm.num_agpr, 0
	.set _Z13bitPackKernelIxmEvPKhPKT_PT0_S4_PKm.numbered_sgpr, 28
	.set _Z13bitPackKernelIxmEvPKhPKT_PT0_S4_PKm.num_named_barrier, 0
	.set _Z13bitPackKernelIxmEvPKhPKT_PT0_S4_PKm.private_seg_size, 0
	.set _Z13bitPackKernelIxmEvPKhPKT_PT0_S4_PKm.uses_vcc, 1
	.set _Z13bitPackKernelIxmEvPKhPKT_PT0_S4_PKm.uses_flat_scratch, 0
	.set _Z13bitPackKernelIxmEvPKhPKT_PT0_S4_PKm.has_dyn_sized_stack, 0
	.set _Z13bitPackKernelIxmEvPKhPKT_PT0_S4_PKm.has_recursion, 0
	.set _Z13bitPackKernelIxmEvPKhPKT_PT0_S4_PKm.has_indirect_call, 0
	.section	.AMDGPU.csdata,"",@progbits
; Kernel info:
; codeLenInByte = 3404
; TotalNumSgprs: 30
; NumVgprs: 30
; ScratchSize: 0
; MemoryBound: 0
; FloatMode: 240
; IeeeMode: 1
; LDSByteSize: 2048 bytes/workgroup (compile time only)
; SGPRBlocks: 0
; VGPRBlocks: 1
; NumSGPRsForWavesPerEU: 30
; NumVGPRsForWavesPerEU: 30
; NamedBarCnt: 0
; Occupancy: 16
; WaveLimiterHint : 0
; COMPUTE_PGM_RSRC2:SCRATCH_EN: 0
; COMPUTE_PGM_RSRC2:USER_SGPR: 2
; COMPUTE_PGM_RSRC2:TRAP_HANDLER: 0
; COMPUTE_PGM_RSRC2:TGID_X_EN: 1
; COMPUTE_PGM_RSRC2:TGID_Y_EN: 0
; COMPUTE_PGM_RSRC2:TGID_Z_EN: 0
; COMPUTE_PGM_RSRC2:TIDIG_COMP_CNT: 0
	.section	.text._Z23bitPackConfigScanKernelIyyEvPT_S1_PKT0_PKm,"axG",@progbits,_Z23bitPackConfigScanKernelIyyEvPT_S1_PKT0_PKm,comdat
	.protected	_Z23bitPackConfigScanKernelIyyEvPT_S1_PKT0_PKm ; -- Begin function _Z23bitPackConfigScanKernelIyyEvPT_S1_PKT0_PKm
	.globl	_Z23bitPackConfigScanKernelIyyEvPT_S1_PKT0_PKm
	.p2align	8
	.type	_Z23bitPackConfigScanKernelIyyEvPT_S1_PKT0_PKm,@function
_Z23bitPackConfigScanKernelIyyEvPT_S1_PKT0_PKm: ; @_Z23bitPackConfigScanKernelIyyEvPT_S1_PKT0_PKm
; %bb.0:
	s_load_b256 s[4:11], s[0:1], 0x0
	s_wait_kmcnt 0x0
	s_load_b64 s[2:3], s[10:11], 0x0
	s_wait_kmcnt 0x0
	s_and_b64 s[10:11], s[2:3], 0xff
	s_lshr_b64 s[12:13], s[2:3], 8
	s_cmp_lg_u64 s[10:11], 0
	s_cselect_b32 s3, -1, 0
	s_delay_alu instid0(SALU_CYCLE_1)
	s_cmp_lg_u32 s3, 0
	s_add_co_ci_u32 s10, s12, 0
	s_bfe_u32 s3, ttmp6, 0x4000c
	s_and_b32 s11, ttmp6, 15
	s_add_co_i32 s3, s3, 1
	s_getreg_b32 s12, hwreg(HW_REG_IB_STS2, 6, 4)
	s_mul_i32 s3, ttmp9, s3
	s_delay_alu instid0(SALU_CYCLE_1) | instskip(SKIP_2) | instid1(SALU_CYCLE_1)
	s_add_co_i32 s11, s11, s3
	s_cmp_eq_u32 s12, 0
	s_cselect_b32 s3, ttmp9, s11
	s_cmp_ge_u32 s3, s10
	s_cbranch_scc1 .LBB21_82
; %bb.1:
	s_cmp_lt_i32 s3, s10
	s_cbranch_scc1 .LBB21_83
; %bb.2:
	s_cbranch_execz .LBB21_84
; %bb.3:
	v_mov_b64_e32 v[2:3], 0
	v_mov_b64_e32 v[4:5], 0
	s_mov_b32 s1, 0
.LBB21_4:
	v_lshlrev_b32_e32 v6, 3, v0
	v_cmp_lt_u32_e32 vcc_lo, 0x7f, v0
	s_delay_alu instid0(VALU_DEP_2)
	v_add_nc_u32_e32 v1, 0xfffffc00, v6
	ds_store_2addr_stride64_b64 v6, v[4:5], v[2:3] offset1:4
	s_wait_dscnt 0x0
	s_barrier_signal -1
	s_barrier_wait -1
	s_and_saveexec_b32 s0, vcc_lo
	s_delay_alu instid0(SALU_CYCLE_1)
	s_xor_b32 s2, exec_lo, s0
	s_cbranch_execz .LBB21_8
; %bb.5:
	s_mov_b32 s8, exec_lo
	v_cmpx_gt_i32_e64 s1, v0
	s_cbranch_execz .LBB21_7
; %bb.6:
	ds_load_b64 v[2:3], v1
	ds_load_b64 v[4:5], v6
	s_wait_dscnt 0x0
	v_max_u64 v[2:3], v[2:3], v[4:5]
	ds_store_b64 v1, v[2:3]
.LBB21_7:
	s_or_b32 exec_lo, exec_lo, s8
.LBB21_8:
	s_or_saveexec_b32 s2, s2
	v_add_nc_u32_e32 v2, 0x800, v6
	s_xor_b32 exec_lo, exec_lo, s2
	s_cbranch_execz .LBB21_12
; %bb.9:
	v_or_b32_e32 v3, 0x80, v0
	s_mov_b32 s8, exec_lo
	s_delay_alu instid0(VALU_DEP_1)
	v_cmpx_gt_i32_e64 s1, v3
	s_cbranch_execz .LBB21_11
; %bb.10:
	ds_load_2addr_stride64_b64 v[8:11], v2 offset1:2
	s_wait_dscnt 0x0
	v_min_u64 v[4:5], v[8:9], v[10:11]
	ds_store_b64 v2, v[4:5]
.LBB21_11:
	s_or_b32 exec_lo, exec_lo, s8
.LBB21_12:
	s_delay_alu instid0(SALU_CYCLE_1) | instskip(SKIP_4) | instid1(SALU_CYCLE_1)
	s_or_b32 exec_lo, exec_lo, s2
	s_wait_dscnt 0x0
	s_barrier_signal -1
	s_barrier_wait -1
	s_and_saveexec_b32 s0, vcc_lo
	s_xor_b32 s2, exec_lo, s0
	s_cbranch_execz .LBB21_17
; %bb.13:
	s_mov_b32 s8, exec_lo
	v_cmpx_gt_u32_e32 0xc0, v0
	s_cbranch_execz .LBB21_16
; %bb.14:
	v_subrev_nc_u32_e32 v3, 64, v0
	s_delay_alu instid0(VALU_DEP_1)
	v_cmp_gt_i32_e64 s0, s1, v3
	s_and_b32 exec_lo, exec_lo, s0
	s_cbranch_execz .LBB21_16
; %bb.15:
	v_add_nc_u32_e32 v3, 0xfffffe00, v6
	ds_load_b64 v[4:5], v1
	ds_load_b64 v[8:9], v3
	s_wait_dscnt 0x0
	v_max_u64 v[4:5], v[4:5], v[8:9]
	ds_store_b64 v1, v[4:5]
.LBB21_16:
	s_or_b32 exec_lo, exec_lo, s8
.LBB21_17:
	s_and_not1_saveexec_b32 s2, s2
	s_cbranch_execz .LBB21_22
; %bb.18:
	s_mov_b32 s8, exec_lo
	v_cmpx_gt_u32_e32 64, v0
	s_cbranch_execz .LBB21_21
; %bb.19:
	v_or_b32_e32 v3, 64, v0
	s_delay_alu instid0(VALU_DEP_1)
	v_cmp_gt_i32_e64 s0, s1, v3
	s_and_b32 exec_lo, exec_lo, s0
	s_cbranch_execz .LBB21_21
; %bb.20:
	ds_load_2addr_stride64_b64 v[8:11], v2 offset1:1
	s_wait_dscnt 0x0
	v_min_u64 v[4:5], v[8:9], v[10:11]
	ds_store_b64 v2, v[4:5]
.LBB21_21:
	s_or_b32 exec_lo, exec_lo, s8
.LBB21_22:
	s_delay_alu instid0(SALU_CYCLE_1) | instskip(SKIP_4) | instid1(SALU_CYCLE_1)
	s_or_b32 exec_lo, exec_lo, s2
	s_wait_dscnt 0x0
	s_barrier_signal -1
	s_barrier_wait -1
	s_and_saveexec_b32 s0, vcc_lo
	s_xor_b32 s2, exec_lo, s0
	s_cbranch_execz .LBB21_27
; %bb.23:
	s_mov_b32 s8, exec_lo
	v_cmpx_gt_u32_e32 0xa0, v0
	s_cbranch_execz .LBB21_26
; %bb.24:
	v_add_nc_u32_e32 v3, 0xffffffa0, v0
	s_delay_alu instid0(VALU_DEP_1)
	v_cmp_gt_i32_e64 s0, s1, v3
	s_and_b32 exec_lo, exec_lo, s0
	s_cbranch_execz .LBB21_26
; %bb.25:
	v_add_nc_u32_e32 v3, 0xfffffd00, v6
	ds_load_b64 v[4:5], v1
	ds_load_b64 v[8:9], v3
	s_wait_dscnt 0x0
	v_max_u64 v[4:5], v[4:5], v[8:9]
	ds_store_b64 v1, v[4:5]
.LBB21_26:
	s_or_b32 exec_lo, exec_lo, s8
.LBB21_27:
	s_and_not1_saveexec_b32 s2, s2
	s_cbranch_execz .LBB21_32
; %bb.28:
	s_mov_b32 s8, exec_lo
	v_cmpx_gt_u32_e32 32, v0
	s_cbranch_execz .LBB21_31
; %bb.29:
	v_or_b32_e32 v3, 32, v0
	s_delay_alu instid0(VALU_DEP_1)
	v_cmp_gt_i32_e64 s0, s1, v3
	s_and_b32 exec_lo, exec_lo, s0
	s_cbranch_execz .LBB21_31
; %bb.30:
	ds_load_2addr_b64 v[8:11], v2 offset1:32
	s_wait_dscnt 0x0
	v_min_u64 v[4:5], v[8:9], v[10:11]
	ds_store_b64 v2, v[4:5]
.LBB21_31:
	s_or_b32 exec_lo, exec_lo, s8
.LBB21_32:
	s_delay_alu instid0(SALU_CYCLE_1) | instskip(SKIP_4) | instid1(SALU_CYCLE_1)
	s_or_b32 exec_lo, exec_lo, s2
	s_wait_dscnt 0x0
	s_barrier_signal -1
	s_barrier_wait -1
	s_and_saveexec_b32 s0, vcc_lo
	s_xor_b32 s2, exec_lo, s0
	s_cbranch_execz .LBB21_37
; %bb.33:
	s_mov_b32 s8, exec_lo
	v_cmpx_gt_u32_e32 0x90, v0
	s_cbranch_execz .LBB21_36
; %bb.34:
	v_add_nc_u32_e32 v3, 0xffffff90, v0
	s_delay_alu instid0(VALU_DEP_1)
	v_cmp_gt_i32_e64 s0, s1, v3
	s_and_b32 exec_lo, exec_lo, s0
	s_cbranch_execz .LBB21_36
; %bb.35:
	v_add_nc_u32_e32 v3, 0xfffffc80, v6
	ds_load_b64 v[4:5], v1
	ds_load_b64 v[8:9], v3
	s_wait_dscnt 0x0
	v_max_u64 v[4:5], v[4:5], v[8:9]
	ds_store_b64 v1, v[4:5]
.LBB21_36:
	s_or_b32 exec_lo, exec_lo, s8
.LBB21_37:
	s_and_not1_saveexec_b32 s2, s2
	s_cbranch_execz .LBB21_42
; %bb.38:
	s_mov_b32 s8, exec_lo
	v_cmpx_gt_u32_e32 16, v0
	s_cbranch_execz .LBB21_41
; %bb.39:
	v_or_b32_e32 v3, 16, v0
	s_delay_alu instid0(VALU_DEP_1)
	v_cmp_gt_i32_e64 s0, s1, v3
	s_and_b32 exec_lo, exec_lo, s0
	s_cbranch_execz .LBB21_41
; %bb.40:
	ds_load_2addr_b64 v[8:11], v2 offset1:16
	s_wait_dscnt 0x0
	v_min_u64 v[4:5], v[8:9], v[10:11]
	ds_store_b64 v2, v[4:5]
.LBB21_41:
	s_or_b32 exec_lo, exec_lo, s8
.LBB21_42:
	;; [unrolled: 48-line block ×5, first 2 shown]
	s_delay_alu instid0(SALU_CYCLE_1)
	s_or_b32 exec_lo, exec_lo, s2
	s_cmp_gt_i32 s1, 1
	s_wait_dscnt 0x0
	s_cselect_b32 s0, -1, 0
	s_barrier_signal -1
	s_barrier_wait -1
	s_and_saveexec_b32 s1, vcc_lo
	s_delay_alu instid0(SALU_CYCLE_1)
	s_xor_b32 s1, exec_lo, s1
	s_cbranch_execz .LBB21_76
; %bb.73:
	v_cmp_eq_u32_e32 vcc_lo, 0x80, v0
	s_and_b32 s8, vcc_lo, s0
	s_delay_alu instid0(SALU_CYCLE_1)
	s_and_saveexec_b32 s2, s8
	s_cbranch_execz .LBB21_75
; %bb.74:
	v_mov_b32_e32 v4, 0
	ds_load_b64 v[2:3], v1
	ds_load_b64 v[4:5], v4 offset:8
	s_wait_dscnt 0x0
	v_max_u64 v[2:3], v[2:3], v[4:5]
	ds_store_b64 v1, v[2:3]
.LBB21_75:
	s_or_b32 exec_lo, exec_lo, s2
                                        ; implicit-def: $vgpr2
.LBB21_76:
	s_and_not1_saveexec_b32 s1, s1
	s_cbranch_execz .LBB21_80
; %bb.77:
	v_cmp_eq_u32_e32 vcc_lo, 0, v0
	s_and_b32 s2, vcc_lo, s0
	s_delay_alu instid0(SALU_CYCLE_1)
	s_and_saveexec_b32 s0, s2
	s_cbranch_execz .LBB21_79
; %bb.78:
	v_mov_b32_e32 v1, 0
	ds_load_b64 v[4:5], v2
	ds_load_b64 v[6:7], v1 offset:2056
	s_wait_dscnt 0x0
	v_min_u64 v[4:5], v[4:5], v[6:7]
	ds_store_b64 v2, v[4:5]
.LBB21_79:
	s_or_b32 exec_lo, exec_lo, s0
.LBB21_80:
	s_delay_alu instid0(SALU_CYCLE_1)
	s_or_b32 exec_lo, exec_lo, s1
	s_wait_dscnt 0x0
	s_barrier_signal -1
	s_barrier_wait -1
	s_mov_b32 s0, exec_lo
	v_cmpx_eq_u32_e32 0, v0
	s_cbranch_execz .LBB21_82
; %bb.81:
	v_dual_mov_b32 v0, 0 :: v_dual_mov_b32 v4, s3
	ds_load_2addr_stride64_b64 v[0:3], v0 offset1:4
	s_wait_dscnt 0x0
	s_clause 0x1
	global_store_b64 v4, v[2:3], s[4:5] scale_offset
	global_store_b64 v4, v[0:1], s[6:7] scale_offset
.LBB21_82:
	s_endpgm
.LBB21_83:
.LBB21_84:
	s_load_b32 s0, s[0:1], 0x20
	s_wait_xcnt 0x0
	s_lshl_b32 s1, s3, 8
	v_mov_b64_e32 v[2:3], 0
	v_mov_b64_e32 v[4:5], 0
	v_add_nc_u32_e32 v1, s1, v0
	s_mov_b32 s11, 0
	s_sub_co_i32 s2, s2, s1
	s_mov_b32 s1, 0
	s_wait_kmcnt 0x0
	s_lshl_b32 s12, s0, 8
	s_branch .LBB21_86
.LBB21_85:                              ;   in Loop: Header=BB21_86 Depth=1
	s_or_b32 exec_lo, exec_lo, s14
	s_add_co_i32 s11, s11, s0
	v_add_nc_u32_e32 v1, s12, v1
	s_max_i32 s1, s1, s13
	s_add_co_i32 s13, s3, s11
	s_sub_co_i32 s2, s2, s12
	s_cmp_ge_i32 s13, s10
	s_cbranch_scc1 .LBB21_4
.LBB21_86:                              ; =>This Inner Loop Header: Depth=1
	s_min_i32 s13, s2, 0x100
	s_mov_b32 s14, exec_lo
	v_cmpx_gt_u32_e64 s13, v0
	s_cbranch_execz .LBB21_85
; %bb.87:                               ;   in Loop: Header=BB21_86 Depth=1
	global_load_b64 v[6:7], v1, s[8:9] scale_offset
	s_cmp_eq_u32 s11, 0
	s_cselect_b32 vcc_lo, -1, 0
	s_wait_loadcnt 0x0
	v_max_u64 v[4:5], v[6:7], v[4:5]
	v_min_u64 v[2:3], v[6:7], v[2:3]
	s_delay_alu instid0(VALU_DEP_2) | instskip(NEXT) | instid1(VALU_DEP_2)
	v_dual_cndmask_b32 v5, v5, v7 :: v_dual_cndmask_b32 v4, v4, v6
	v_dual_cndmask_b32 v3, v3, v7 :: v_dual_cndmask_b32 v2, v2, v6
	s_branch .LBB21_85
	.section	.rodata,"a",@progbits
	.p2align	6, 0x0
	.amdhsa_kernel _Z23bitPackConfigScanKernelIyyEvPT_S1_PKT0_PKm
		.amdhsa_group_segment_fixed_size 4096
		.amdhsa_private_segment_fixed_size 0
		.amdhsa_kernarg_size 288
		.amdhsa_user_sgpr_count 2
		.amdhsa_user_sgpr_dispatch_ptr 0
		.amdhsa_user_sgpr_queue_ptr 0
		.amdhsa_user_sgpr_kernarg_segment_ptr 1
		.amdhsa_user_sgpr_dispatch_id 0
		.amdhsa_user_sgpr_kernarg_preload_length 0
		.amdhsa_user_sgpr_kernarg_preload_offset 0
		.amdhsa_user_sgpr_private_segment_size 0
		.amdhsa_wavefront_size32 1
		.amdhsa_uses_dynamic_stack 0
		.amdhsa_enable_private_segment 0
		.amdhsa_system_sgpr_workgroup_id_x 1
		.amdhsa_system_sgpr_workgroup_id_y 0
		.amdhsa_system_sgpr_workgroup_id_z 0
		.amdhsa_system_sgpr_workgroup_info 0
		.amdhsa_system_vgpr_workitem_id 0
		.amdhsa_next_free_vgpr 12
		.amdhsa_next_free_sgpr 15
		.amdhsa_named_barrier_count 0
		.amdhsa_reserve_vcc 1
		.amdhsa_float_round_mode_32 0
		.amdhsa_float_round_mode_16_64 0
		.amdhsa_float_denorm_mode_32 3
		.amdhsa_float_denorm_mode_16_64 3
		.amdhsa_fp16_overflow 0
		.amdhsa_memory_ordered 1
		.amdhsa_forward_progress 1
		.amdhsa_inst_pref_size 16
		.amdhsa_round_robin_scheduling 0
		.amdhsa_exception_fp_ieee_invalid_op 0
		.amdhsa_exception_fp_denorm_src 0
		.amdhsa_exception_fp_ieee_div_zero 0
		.amdhsa_exception_fp_ieee_overflow 0
		.amdhsa_exception_fp_ieee_underflow 0
		.amdhsa_exception_fp_ieee_inexact 0
		.amdhsa_exception_int_div_zero 0
	.end_amdhsa_kernel
	.section	.text._Z23bitPackConfigScanKernelIyyEvPT_S1_PKT0_PKm,"axG",@progbits,_Z23bitPackConfigScanKernelIyyEvPT_S1_PKT0_PKm,comdat
.Lfunc_end21:
	.size	_Z23bitPackConfigScanKernelIyyEvPT_S1_PKT0_PKm, .Lfunc_end21-_Z23bitPackConfigScanKernelIyyEvPT_S1_PKT0_PKm
                                        ; -- End function
	.set _Z23bitPackConfigScanKernelIyyEvPT_S1_PKT0_PKm.num_vgpr, 12
	.set _Z23bitPackConfigScanKernelIyyEvPT_S1_PKT0_PKm.num_agpr, 0
	.set _Z23bitPackConfigScanKernelIyyEvPT_S1_PKT0_PKm.numbered_sgpr, 15
	.set _Z23bitPackConfigScanKernelIyyEvPT_S1_PKT0_PKm.num_named_barrier, 0
	.set _Z23bitPackConfigScanKernelIyyEvPT_S1_PKT0_PKm.private_seg_size, 0
	.set _Z23bitPackConfigScanKernelIyyEvPT_S1_PKT0_PKm.uses_vcc, 1
	.set _Z23bitPackConfigScanKernelIyyEvPT_S1_PKT0_PKm.uses_flat_scratch, 0
	.set _Z23bitPackConfigScanKernelIyyEvPT_S1_PKT0_PKm.has_dyn_sized_stack, 0
	.set _Z23bitPackConfigScanKernelIyyEvPT_S1_PKT0_PKm.has_recursion, 0
	.set _Z23bitPackConfigScanKernelIyyEvPT_S1_PKT0_PKm.has_indirect_call, 0
	.section	.AMDGPU.csdata,"",@progbits
; Kernel info:
; codeLenInByte = 1964
; TotalNumSgprs: 17
; NumVgprs: 12
; ScratchSize: 0
; MemoryBound: 0
; FloatMode: 240
; IeeeMode: 1
; LDSByteSize: 4096 bytes/workgroup (compile time only)
; SGPRBlocks: 0
; VGPRBlocks: 0
; NumSGPRsForWavesPerEU: 17
; NumVGPRsForWavesPerEU: 12
; NamedBarCnt: 0
; Occupancy: 16
; WaveLimiterHint : 0
; COMPUTE_PGM_RSRC2:SCRATCH_EN: 0
; COMPUTE_PGM_RSRC2:USER_SGPR: 2
; COMPUTE_PGM_RSRC2:TRAP_HANDLER: 0
; COMPUTE_PGM_RSRC2:TGID_X_EN: 1
; COMPUTE_PGM_RSRC2:TGID_Y_EN: 0
; COMPUTE_PGM_RSRC2:TGID_Z_EN: 0
; COMPUTE_PGM_RSRC2:TIDIG_COMP_CNT: 0
	.section	.text._Z27bitPackConfigFinalizeKernelIyyEvPKT_S2_PhPT0_PKm,"axG",@progbits,_Z27bitPackConfigFinalizeKernelIyyEvPKT_S2_PhPT0_PKm,comdat
	.protected	_Z27bitPackConfigFinalizeKernelIyyEvPKT_S2_PhPT0_PKm ; -- Begin function _Z27bitPackConfigFinalizeKernelIyyEvPKT_S2_PhPT0_PKm
	.globl	_Z27bitPackConfigFinalizeKernelIyyEvPKT_S2_PhPT0_PKm
	.p2align	8
	.type	_Z27bitPackConfigFinalizeKernelIyyEvPKT_S2_PhPT0_PKm,@function
_Z27bitPackConfigFinalizeKernelIyyEvPKT_S2_PhPT0_PKm: ; @_Z27bitPackConfigFinalizeKernelIyyEvPKT_S2_PhPT0_PKm
; %bb.0:
	s_load_b64 s[2:3], s[0:1], 0x20
	s_wait_kmcnt 0x0
	s_load_b64 s[2:3], s[2:3], 0x0
	s_wait_kmcnt 0x0
	s_and_b64 s[4:5], s[2:3], 0xff
	s_lshr_b64 s[2:3], s[2:3], 8
	s_cmp_lg_u64 s[4:5], 0
	s_mov_b32 s4, 0
	s_cselect_b32 s5, -1, 0
	v_mov_b32_e32 v3, s4
	v_cndmask_b32_e64 v2, 0, 1, s5
	s_load_b256 s[4:11], s[0:1], 0x0
	s_wait_xcnt 0x0
	s_mov_b32 s1, exec_lo
	s_delay_alu instid0(VALU_DEP_1) | instskip(NEXT) | instid1(VALU_DEP_1)
	v_add_nc_u64_e32 v[2:3], s[2:3], v[2:3]
	v_min_u64 v[4:5], 0x1000, v[2:3]
	s_delay_alu instid0(VALU_DEP_1)
	v_cmpx_lt_u32_e64 v0, v4
	s_cbranch_execz .LBB22_6
; %bb.1:
	s_wait_kmcnt 0x0
	s_clause 0x1
	global_load_b64 v[6:7], v0, s[4:5] scale_offset
	global_load_b64 v[8:9], v0, s[6:7] scale_offset
	v_add_nc_u32_e32 v1, 0x100, v0
	s_mov_b32 s2, exec_lo
	s_wait_xcnt 0x0
	s_delay_alu instid0(VALU_DEP_1)
	v_cmpx_lt_u32_e64 v1, v4
	s_cbranch_execz .LBB22_5
; %bb.2:
	v_dual_mov_b32 v11, 0 :: v_dual_lshlrev_b32 v10, 3, v0
	s_mov_b32 s3, 0
	s_delay_alu instid0(VALU_DEP_1) | instskip(NEXT) | instid1(VALU_DEP_1)
	v_add_nc_u64_e32 v[12:13], 0x800, v[10:11]
	v_add_nc_u64_e32 v[10:11], s[4:5], v[12:13]
	;; [unrolled: 1-line block ×3, first 2 shown]
.LBB22_3:                               ; =>This Inner Loop Header: Depth=1
	global_load_b64 v[14:15], v[10:11], off
	global_load_b64 v[16:17], v[12:13], off
	v_add_nc_u32_e32 v5, 0x100, v1
	v_cmp_lt_u32_e32 vcc_lo, 0xeff, v1
	s_wait_xcnt 0x1
	v_add_nc_u64_e32 v[10:11], 0x800, v[10:11]
	s_wait_xcnt 0x0
	v_add_nc_u64_e32 v[12:13], 0x800, v[12:13]
	v_cmp_ge_u32_e64 s0, v5, v4
	v_mov_b32_e32 v1, v5
	s_or_b32 s0, vcc_lo, s0
	s_delay_alu instid0(SALU_CYCLE_1) | instskip(NEXT) | instid1(SALU_CYCLE_1)
	s_and_b32 s0, exec_lo, s0
	s_or_b32 s3, s0, s3
	s_wait_loadcnt 0x1
	v_min_u64 v[6:7], v[14:15], v[6:7]
	s_wait_loadcnt 0x0
	v_max_u64 v[8:9], v[16:17], v[8:9]
	s_and_not1_b32 exec_lo, exec_lo, s3
	s_cbranch_execnz .LBB22_3
; %bb.4:
	s_or_b32 exec_lo, exec_lo, s3
.LBB22_5:
	s_delay_alu instid0(SALU_CYCLE_1)
	s_or_b32 exec_lo, exec_lo, s2
	v_lshlrev_b32_e32 v1, 3, v0
	s_wait_loadcnt 0x0
	ds_store_2addr_stride64_b64 v1, v[8:9], v[6:7] offset1:4
.LBB22_6:
	s_or_b32 exec_lo, exec_lo, s1
	v_lshlrev_b32_e32 v6, 3, v0
	v_min_u32_e32 v5, 0x100, v4
	v_cmp_lt_u32_e32 vcc_lo, 0x7f, v0
	s_wait_dscnt 0x0
	s_barrier_signal -1
	v_add_nc_u32_e32 v1, 0xfffffc00, v6
	s_barrier_wait -1
	s_and_saveexec_b32 s0, vcc_lo
	s_delay_alu instid0(SALU_CYCLE_1)
	s_xor_b32 s1, exec_lo, s0
	s_cbranch_execz .LBB22_10
; %bb.7:
	s_mov_b32 s2, exec_lo
	v_cmpx_lt_u32_e64 v0, v5
	s_cbranch_execz .LBB22_9
; %bb.8:
	ds_load_b64 v[8:9], v1
	ds_load_b64 v[10:11], v6
	s_wait_dscnt 0x0
	v_max_u64 v[8:9], v[8:9], v[10:11]
	ds_store_b64 v1, v[8:9]
.LBB22_9:
	s_or_b32 exec_lo, exec_lo, s2
.LBB22_10:
	s_or_saveexec_b32 s1, s1
	v_add_nc_u32_e32 v4, 0x800, v6
	s_xor_b32 exec_lo, exec_lo, s1
	s_cbranch_execz .LBB22_14
; %bb.11:
	v_or_b32_e32 v7, 0x80, v0
	s_mov_b32 s2, exec_lo
	s_delay_alu instid0(VALU_DEP_1)
	v_cmpx_lt_u32_e64 v7, v5
	s_cbranch_execz .LBB22_13
; %bb.12:
	ds_load_2addr_stride64_b64 v[8:11], v4 offset1:2
	s_wait_dscnt 0x0
	v_min_u64 v[8:9], v[8:9], v[10:11]
	ds_store_b64 v4, v[8:9]
.LBB22_13:
	s_or_b32 exec_lo, exec_lo, s2
.LBB22_14:
	s_delay_alu instid0(SALU_CYCLE_1) | instskip(SKIP_4) | instid1(SALU_CYCLE_1)
	s_or_b32 exec_lo, exec_lo, s1
	s_wait_dscnt 0x0
	s_barrier_signal -1
	s_barrier_wait -1
	s_and_saveexec_b32 s0, vcc_lo
	s_xor_b32 s1, exec_lo, s0
	s_cbranch_execz .LBB22_19
; %bb.15:
	s_mov_b32 s2, exec_lo
	v_cmpx_gt_u32_e32 0xc0, v0
	s_cbranch_execz .LBB22_18
; %bb.16:
	v_subrev_nc_u32_e32 v7, 64, v0
	s_delay_alu instid0(VALU_DEP_1)
	v_cmp_lt_u32_e64 s0, v7, v5
	s_and_b32 exec_lo, exec_lo, s0
	s_cbranch_execz .LBB22_18
; %bb.17:
	v_add_nc_u32_e32 v7, 0xfffffe00, v6
	ds_load_b64 v[8:9], v1
	ds_load_b64 v[10:11], v7
	s_wait_dscnt 0x0
	v_max_u64 v[8:9], v[8:9], v[10:11]
	ds_store_b64 v1, v[8:9]
.LBB22_18:
	s_or_b32 exec_lo, exec_lo, s2
.LBB22_19:
	s_and_not1_saveexec_b32 s1, s1
	s_cbranch_execz .LBB22_24
; %bb.20:
	s_mov_b32 s2, exec_lo
	v_cmpx_gt_u32_e32 64, v0
	s_cbranch_execz .LBB22_23
; %bb.21:
	v_or_b32_e32 v7, 64, v0
	s_delay_alu instid0(VALU_DEP_1)
	v_cmp_lt_u32_e64 s0, v7, v5
	s_and_b32 exec_lo, exec_lo, s0
	s_cbranch_execz .LBB22_23
; %bb.22:
	ds_load_2addr_stride64_b64 v[8:11], v4 offset1:1
	s_wait_dscnt 0x0
	v_min_u64 v[8:9], v[8:9], v[10:11]
	ds_store_b64 v4, v[8:9]
.LBB22_23:
	s_or_b32 exec_lo, exec_lo, s2
.LBB22_24:
	s_delay_alu instid0(SALU_CYCLE_1) | instskip(SKIP_4) | instid1(SALU_CYCLE_1)
	s_or_b32 exec_lo, exec_lo, s1
	s_wait_dscnt 0x0
	s_barrier_signal -1
	s_barrier_wait -1
	s_and_saveexec_b32 s0, vcc_lo
	s_xor_b32 s1, exec_lo, s0
	s_cbranch_execz .LBB22_29
; %bb.25:
	s_mov_b32 s2, exec_lo
	v_cmpx_gt_u32_e32 0xa0, v0
	s_cbranch_execz .LBB22_28
; %bb.26:
	v_add_nc_u32_e32 v7, 0xffffffa0, v0
	s_delay_alu instid0(VALU_DEP_1)
	v_cmp_lt_u32_e64 s0, v7, v5
	s_and_b32 exec_lo, exec_lo, s0
	s_cbranch_execz .LBB22_28
; %bb.27:
	v_add_nc_u32_e32 v7, 0xfffffd00, v6
	ds_load_b64 v[8:9], v1
	ds_load_b64 v[10:11], v7
	s_wait_dscnt 0x0
	v_max_u64 v[8:9], v[8:9], v[10:11]
	ds_store_b64 v1, v[8:9]
.LBB22_28:
	s_or_b32 exec_lo, exec_lo, s2
.LBB22_29:
	s_and_not1_saveexec_b32 s1, s1
	s_cbranch_execz .LBB22_34
; %bb.30:
	s_mov_b32 s2, exec_lo
	v_cmpx_gt_u32_e32 32, v0
	s_cbranch_execz .LBB22_33
; %bb.31:
	v_or_b32_e32 v7, 32, v0
	s_delay_alu instid0(VALU_DEP_1)
	v_cmp_lt_u32_e64 s0, v7, v5
	s_and_b32 exec_lo, exec_lo, s0
	s_cbranch_execz .LBB22_33
; %bb.32:
	ds_load_2addr_b64 v[8:11], v4 offset1:32
	s_wait_dscnt 0x0
	v_min_u64 v[8:9], v[8:9], v[10:11]
	ds_store_b64 v4, v[8:9]
.LBB22_33:
	s_or_b32 exec_lo, exec_lo, s2
.LBB22_34:
	s_delay_alu instid0(SALU_CYCLE_1) | instskip(SKIP_4) | instid1(SALU_CYCLE_1)
	s_or_b32 exec_lo, exec_lo, s1
	s_wait_dscnt 0x0
	s_barrier_signal -1
	s_barrier_wait -1
	s_and_saveexec_b32 s0, vcc_lo
	s_xor_b32 s1, exec_lo, s0
	s_cbranch_execz .LBB22_39
; %bb.35:
	s_mov_b32 s2, exec_lo
	v_cmpx_gt_u32_e32 0x90, v0
	s_cbranch_execz .LBB22_38
; %bb.36:
	v_add_nc_u32_e32 v7, 0xffffff90, v0
	s_delay_alu instid0(VALU_DEP_1)
	v_cmp_lt_u32_e64 s0, v7, v5
	s_and_b32 exec_lo, exec_lo, s0
	s_cbranch_execz .LBB22_38
; %bb.37:
	v_add_nc_u32_e32 v7, 0xfffffc80, v6
	ds_load_b64 v[8:9], v1
	ds_load_b64 v[10:11], v7
	s_wait_dscnt 0x0
	v_max_u64 v[8:9], v[8:9], v[10:11]
	ds_store_b64 v1, v[8:9]
.LBB22_38:
	s_or_b32 exec_lo, exec_lo, s2
.LBB22_39:
	s_and_not1_saveexec_b32 s1, s1
	s_cbranch_execz .LBB22_44
; %bb.40:
	s_mov_b32 s2, exec_lo
	v_cmpx_gt_u32_e32 16, v0
	s_cbranch_execz .LBB22_43
; %bb.41:
	v_or_b32_e32 v7, 16, v0
	s_delay_alu instid0(VALU_DEP_1)
	v_cmp_lt_u32_e64 s0, v7, v5
	s_and_b32 exec_lo, exec_lo, s0
	s_cbranch_execz .LBB22_43
; %bb.42:
	ds_load_2addr_b64 v[8:11], v4 offset1:16
	s_wait_dscnt 0x0
	v_min_u64 v[8:9], v[8:9], v[10:11]
	ds_store_b64 v4, v[8:9]
.LBB22_43:
	s_or_b32 exec_lo, exec_lo, s2
.LBB22_44:
	s_delay_alu instid0(SALU_CYCLE_1) | instskip(SKIP_4) | instid1(SALU_CYCLE_1)
	s_or_b32 exec_lo, exec_lo, s1
	s_wait_dscnt 0x0
	s_barrier_signal -1
	s_barrier_wait -1
	s_and_saveexec_b32 s0, vcc_lo
	s_xor_b32 s1, exec_lo, s0
	s_cbranch_execz .LBB22_49
; %bb.45:
	s_mov_b32 s2, exec_lo
	v_cmpx_gt_u32_e32 0x88, v0
	s_cbranch_execz .LBB22_48
; %bb.46:
	v_add_nc_u32_e32 v7, 0xffffff88, v0
	s_delay_alu instid0(VALU_DEP_1)
	v_cmp_lt_u32_e64 s0, v7, v5
	s_and_b32 exec_lo, exec_lo, s0
	s_cbranch_execz .LBB22_48
; %bb.47:
	v_add_nc_u32_e32 v7, 0xfffffc40, v6
	ds_load_b64 v[8:9], v1
	ds_load_b64 v[10:11], v7
	s_wait_dscnt 0x0
	v_max_u64 v[8:9], v[8:9], v[10:11]
	ds_store_b64 v1, v[8:9]
.LBB22_48:
	s_or_b32 exec_lo, exec_lo, s2
.LBB22_49:
	s_and_not1_saveexec_b32 s1, s1
	s_cbranch_execz .LBB22_54
; %bb.50:
	s_mov_b32 s2, exec_lo
	v_cmpx_gt_u32_e32 8, v0
	s_cbranch_execz .LBB22_53
; %bb.51:
	v_or_b32_e32 v7, 8, v0
	s_delay_alu instid0(VALU_DEP_1)
	v_cmp_lt_u32_e64 s0, v7, v5
	s_and_b32 exec_lo, exec_lo, s0
	s_cbranch_execz .LBB22_53
; %bb.52:
	ds_load_2addr_b64 v[8:11], v4 offset1:8
	s_wait_dscnt 0x0
	v_min_u64 v[8:9], v[8:9], v[10:11]
	ds_store_b64 v4, v[8:9]
.LBB22_53:
	s_or_b32 exec_lo, exec_lo, s2
.LBB22_54:
	s_delay_alu instid0(SALU_CYCLE_1) | instskip(SKIP_4) | instid1(SALU_CYCLE_1)
	s_or_b32 exec_lo, exec_lo, s1
	s_wait_dscnt 0x0
	s_barrier_signal -1
	s_barrier_wait -1
	s_and_saveexec_b32 s0, vcc_lo
	s_xor_b32 s1, exec_lo, s0
	s_cbranch_execz .LBB22_59
; %bb.55:
	s_mov_b32 s2, exec_lo
	v_cmpx_gt_u32_e32 0x84, v0
	s_cbranch_execz .LBB22_58
; %bb.56:
	v_add_nc_u32_e32 v7, 0xffffff84, v0
	s_delay_alu instid0(VALU_DEP_1)
	v_cmp_lt_u32_e64 s0, v7, v5
	s_and_b32 exec_lo, exec_lo, s0
	s_cbranch_execz .LBB22_58
; %bb.57:
	v_add_nc_u32_e32 v7, 0xfffffc20, v6
	ds_load_b64 v[8:9], v1
	ds_load_b64 v[10:11], v7
	s_wait_dscnt 0x0
	v_max_u64 v[8:9], v[8:9], v[10:11]
	ds_store_b64 v1, v[8:9]
.LBB22_58:
	s_or_b32 exec_lo, exec_lo, s2
.LBB22_59:
	s_and_not1_saveexec_b32 s1, s1
	s_cbranch_execz .LBB22_64
; %bb.60:
	s_mov_b32 s2, exec_lo
	v_cmpx_gt_u32_e32 4, v0
	s_cbranch_execz .LBB22_63
; %bb.61:
	v_or_b32_e32 v7, 4, v0
	s_delay_alu instid0(VALU_DEP_1)
	v_cmp_lt_u32_e64 s0, v7, v5
	s_and_b32 exec_lo, exec_lo, s0
	s_cbranch_execz .LBB22_63
; %bb.62:
	ds_load_2addr_b64 v[8:11], v4 offset1:4
	s_wait_dscnt 0x0
	v_min_u64 v[8:9], v[8:9], v[10:11]
	ds_store_b64 v4, v[8:9]
.LBB22_63:
	s_or_b32 exec_lo, exec_lo, s2
.LBB22_64:
	s_delay_alu instid0(SALU_CYCLE_1) | instskip(SKIP_4) | instid1(SALU_CYCLE_1)
	s_or_b32 exec_lo, exec_lo, s1
	s_wait_dscnt 0x0
	s_barrier_signal -1
	s_barrier_wait -1
	s_and_saveexec_b32 s0, vcc_lo
	s_xor_b32 s1, exec_lo, s0
	s_cbranch_execz .LBB22_69
; %bb.65:
	s_mov_b32 s2, exec_lo
	v_cmpx_gt_u32_e32 0x82, v0
	s_cbranch_execz .LBB22_68
; %bb.66:
	v_add_nc_u32_e32 v7, 0xffffff82, v0
	s_delay_alu instid0(VALU_DEP_1)
	v_cmp_lt_u32_e64 s0, v7, v5
	s_and_b32 exec_lo, exec_lo, s0
	s_cbranch_execz .LBB22_68
; %bb.67:
	v_add_nc_u32_e32 v5, 0xfffffc10, v6
	ds_load_b64 v[6:7], v1
	ds_load_b64 v[8:9], v5
	s_wait_dscnt 0x0
	v_max_u64 v[6:7], v[6:7], v[8:9]
	ds_store_b64 v1, v[6:7]
.LBB22_68:
	s_or_b32 exec_lo, exec_lo, s2
                                        ; implicit-def: $vgpr5
.LBB22_69:
	s_and_not1_saveexec_b32 s1, s1
	s_cbranch_execz .LBB22_74
; %bb.70:
	s_mov_b32 s2, exec_lo
	v_cmpx_gt_u32_e32 2, v0
	s_cbranch_execz .LBB22_73
; %bb.71:
	v_or_b32_e32 v6, 2, v0
	s_delay_alu instid0(VALU_DEP_1)
	v_cmp_lt_u32_e64 s0, v6, v5
	s_and_b32 exec_lo, exec_lo, s0
	s_cbranch_execz .LBB22_73
; %bb.72:
	ds_load_2addr_b64 v[6:9], v4 offset1:2
	s_wait_dscnt 0x0
	v_min_u64 v[6:7], v[6:7], v[8:9]
	ds_store_b64 v4, v[6:7]
.LBB22_73:
	s_or_b32 exec_lo, exec_lo, s2
.LBB22_74:
	s_delay_alu instid0(SALU_CYCLE_1)
	s_or_b32 exec_lo, exec_lo, s1
	v_cmp_lt_u64_e64 s0, 1, v[2:3]
	s_wait_dscnt 0x0
	s_barrier_signal -1
	s_barrier_wait -1
	s_and_saveexec_b32 s1, vcc_lo
	s_delay_alu instid0(SALU_CYCLE_1)
	s_xor_b32 s1, exec_lo, s1
	s_cbranch_execz .LBB22_78
; %bb.75:
	v_cmp_eq_u32_e32 vcc_lo, 0x80, v0
	s_and_b32 s3, vcc_lo, s0
	s_delay_alu instid0(SALU_CYCLE_1)
	s_and_saveexec_b32 s2, s3
	s_cbranch_execz .LBB22_77
; %bb.76:
	v_mov_b32_e32 v4, 0
	ds_load_b64 v[2:3], v1
	ds_load_b64 v[4:5], v4 offset:8
	s_wait_dscnt 0x0
	v_max_u64 v[2:3], v[2:3], v[4:5]
	ds_store_b64 v1, v[2:3]
.LBB22_77:
	s_or_b32 exec_lo, exec_lo, s2
                                        ; implicit-def: $vgpr4
.LBB22_78:
	s_and_not1_saveexec_b32 s1, s1
	s_cbranch_execz .LBB22_82
; %bb.79:
	v_cmp_eq_u32_e32 vcc_lo, 0, v0
	s_and_b32 s2, vcc_lo, s0
	s_delay_alu instid0(SALU_CYCLE_1)
	s_and_saveexec_b32 s0, s2
	s_cbranch_execz .LBB22_81
; %bb.80:
	v_mov_b32_e32 v1, 0
	ds_load_b64 v[2:3], v4
	ds_load_b64 v[6:7], v1 offset:2056
	s_wait_dscnt 0x0
	v_min_u64 v[2:3], v[2:3], v[6:7]
	ds_store_b64 v4, v[2:3]
.LBB22_81:
	s_or_b32 exec_lo, exec_lo, s0
.LBB22_82:
	s_delay_alu instid0(SALU_CYCLE_1)
	s_or_b32 exec_lo, exec_lo, s1
	s_wait_dscnt 0x0
	s_barrier_signal -1
	s_barrier_wait -1
	s_mov_b32 s0, exec_lo
	v_cmpx_eq_u32_e32 0, v0
	s_cbranch_execz .LBB22_84
; %bb.83:
	v_mov_b32_e32 v4, 0
	ds_load_2addr_stride64_b64 v[0:3], v4 offset1:4
	s_wait_dscnt 0x0
	v_sub_nc_u64_e32 v[0:1], v[0:1], v[2:3]
	s_delay_alu instid0(VALU_DEP_1) | instskip(NEXT) | instid1(VALU_DEP_2)
	v_clz_i32_u32_e32 v0, v0
	v_clz_i32_u32_e32 v1, v1
	s_delay_alu instid0(VALU_DEP_2) | instskip(NEXT) | instid1(VALU_DEP_1)
	v_add_nc_u32_e64 v0, v0, 32 clamp
	v_min_u32_e32 v0, v0, v1
	s_delay_alu instid0(VALU_DEP_1)
	v_sub_nc_u32_e64 v0, 64, v0 clamp
	s_wait_kmcnt 0x0
	s_clause 0x1
	global_store_b64 v4, v[2:3], s[10:11]
	global_store_b8 v4, v0, s[8:9]
.LBB22_84:
	s_endpgm
	.section	.rodata,"a",@progbits
	.p2align	6, 0x0
	.amdhsa_kernel _Z27bitPackConfigFinalizeKernelIyyEvPKT_S2_PhPT0_PKm
		.amdhsa_group_segment_fixed_size 4096
		.amdhsa_private_segment_fixed_size 0
		.amdhsa_kernarg_size 40
		.amdhsa_user_sgpr_count 2
		.amdhsa_user_sgpr_dispatch_ptr 0
		.amdhsa_user_sgpr_queue_ptr 0
		.amdhsa_user_sgpr_kernarg_segment_ptr 1
		.amdhsa_user_sgpr_dispatch_id 0
		.amdhsa_user_sgpr_kernarg_preload_length 0
		.amdhsa_user_sgpr_kernarg_preload_offset 0
		.amdhsa_user_sgpr_private_segment_size 0
		.amdhsa_wavefront_size32 1
		.amdhsa_uses_dynamic_stack 0
		.amdhsa_enable_private_segment 0
		.amdhsa_system_sgpr_workgroup_id_x 1
		.amdhsa_system_sgpr_workgroup_id_y 0
		.amdhsa_system_sgpr_workgroup_id_z 0
		.amdhsa_system_sgpr_workgroup_info 0
		.amdhsa_system_vgpr_workitem_id 0
		.amdhsa_next_free_vgpr 18
		.amdhsa_next_free_sgpr 12
		.amdhsa_named_barrier_count 0
		.amdhsa_reserve_vcc 1
		.amdhsa_float_round_mode_32 0
		.amdhsa_float_round_mode_16_64 0
		.amdhsa_float_denorm_mode_32 3
		.amdhsa_float_denorm_mode_16_64 3
		.amdhsa_fp16_overflow 0
		.amdhsa_memory_ordered 1
		.amdhsa_forward_progress 1
		.amdhsa_inst_pref_size 17
		.amdhsa_round_robin_scheduling 0
		.amdhsa_exception_fp_ieee_invalid_op 0
		.amdhsa_exception_fp_denorm_src 0
		.amdhsa_exception_fp_ieee_div_zero 0
		.amdhsa_exception_fp_ieee_overflow 0
		.amdhsa_exception_fp_ieee_underflow 0
		.amdhsa_exception_fp_ieee_inexact 0
		.amdhsa_exception_int_div_zero 0
	.end_amdhsa_kernel
	.section	.text._Z27bitPackConfigFinalizeKernelIyyEvPKT_S2_PhPT0_PKm,"axG",@progbits,_Z27bitPackConfigFinalizeKernelIyyEvPKT_S2_PhPT0_PKm,comdat
.Lfunc_end22:
	.size	_Z27bitPackConfigFinalizeKernelIyyEvPKT_S2_PhPT0_PKm, .Lfunc_end22-_Z27bitPackConfigFinalizeKernelIyyEvPKT_S2_PhPT0_PKm
                                        ; -- End function
	.set _Z27bitPackConfigFinalizeKernelIyyEvPKT_S2_PhPT0_PKm.num_vgpr, 18
	.set _Z27bitPackConfigFinalizeKernelIyyEvPKT_S2_PhPT0_PKm.num_agpr, 0
	.set _Z27bitPackConfigFinalizeKernelIyyEvPKT_S2_PhPT0_PKm.numbered_sgpr, 12
	.set _Z27bitPackConfigFinalizeKernelIyyEvPKT_S2_PhPT0_PKm.num_named_barrier, 0
	.set _Z27bitPackConfigFinalizeKernelIyyEvPKT_S2_PhPT0_PKm.private_seg_size, 0
	.set _Z27bitPackConfigFinalizeKernelIyyEvPKT_S2_PhPT0_PKm.uses_vcc, 1
	.set _Z27bitPackConfigFinalizeKernelIyyEvPKT_S2_PhPT0_PKm.uses_flat_scratch, 0
	.set _Z27bitPackConfigFinalizeKernelIyyEvPKT_S2_PhPT0_PKm.has_dyn_sized_stack, 0
	.set _Z27bitPackConfigFinalizeKernelIyyEvPKT_S2_PhPT0_PKm.has_recursion, 0
	.set _Z27bitPackConfigFinalizeKernelIyyEvPKT_S2_PhPT0_PKm.has_indirect_call, 0
	.section	.AMDGPU.csdata,"",@progbits
; Kernel info:
; codeLenInByte = 2064
; TotalNumSgprs: 14
; NumVgprs: 18
; ScratchSize: 0
; MemoryBound: 0
; FloatMode: 240
; IeeeMode: 1
; LDSByteSize: 4096 bytes/workgroup (compile time only)
; SGPRBlocks: 0
; VGPRBlocks: 1
; NumSGPRsForWavesPerEU: 14
; NumVGPRsForWavesPerEU: 18
; NamedBarCnt: 0
; Occupancy: 16
; WaveLimiterHint : 0
; COMPUTE_PGM_RSRC2:SCRATCH_EN: 0
; COMPUTE_PGM_RSRC2:USER_SGPR: 2
; COMPUTE_PGM_RSRC2:TRAP_HANDLER: 0
; COMPUTE_PGM_RSRC2:TGID_X_EN: 1
; COMPUTE_PGM_RSRC2:TGID_Y_EN: 0
; COMPUTE_PGM_RSRC2:TGID_Z_EN: 0
; COMPUTE_PGM_RSRC2:TIDIG_COMP_CNT: 0
	.section	.text._Z13bitPackKernelIymEvPKhPKT_PT0_S4_PKm,"axG",@progbits,_Z13bitPackKernelIymEvPKhPKT_PT0_S4_PKm,comdat
	.protected	_Z13bitPackKernelIymEvPKhPKT_PT0_S4_PKm ; -- Begin function _Z13bitPackKernelIymEvPKhPKT_PT0_S4_PKm
	.globl	_Z13bitPackKernelIymEvPKhPKT_PT0_S4_PKm
	.p2align	8
	.type	_Z13bitPackKernelIymEvPKhPKT_PT0_S4_PKm,@function
_Z13bitPackKernelIymEvPKhPKT_PT0_S4_PKm: ; @_Z13bitPackKernelIymEvPKhPKT_PT0_S4_PKm
; %bb.0:
	s_load_b64 s[2:3], s[0:1], 0x20
	s_mov_b32 s13, 0
	s_wait_kmcnt 0x0
	s_load_b64 s[2:3], s[2:3], 0x0
	s_wait_kmcnt 0x0
	s_and_b64 s[4:5], s[2:3], 0xff
	s_lshr_b64 s[6:7], s[2:3], 8
	s_cmp_lg_u64 s[4:5], 0
	s_cselect_b32 s4, -1, 0
	s_delay_alu instid0(SALU_CYCLE_1)
	s_cmp_lg_u32 s4, 0
	s_add_co_ci_u32 s22, s6, 0
	s_bfe_u32 s4, ttmp6, 0x4000c
	s_and_b32 s5, ttmp6, 15
	s_add_co_i32 s4, s4, 1
	s_getreg_b32 s6, hwreg(HW_REG_IB_STS2, 6, 4)
	s_mul_i32 s4, ttmp9, s4
	s_delay_alu instid0(SALU_CYCLE_1) | instskip(SKIP_2) | instid1(SALU_CYCLE_1)
	s_add_co_i32 s5, s5, s4
	s_cmp_eq_u32 s6, 0
	s_cselect_b32 s23, ttmp9, s5
	s_cmp_ge_i32 s23, s22
	s_cbranch_scc1 .LBB23_36
; %bb.1:
	s_load_b256 s[4:11], s[0:1], 0x0
	v_mov_b32_e32 v2, 0
	s_wait_xcnt 0x0
	s_load_b32 s1, s[0:1], 0x28
	s_bfe_i64 s[14:15], s[2:3], 0x200000
	s_wait_kmcnt 0x0
	global_load_u8 v3, v2, s[4:5]
	s_load_b64 s[6:7], s[6:7], 0x0
	s_wait_loadcnt 0x0
	v_readfirstlane_b32 s12, v3
	v_and_b32_e32 v24, 0xff, v3
	s_and_b64 s[4:5], s[12:13], 0xff
	s_delay_alu instid0(SALU_CYCLE_1) | instskip(SKIP_2) | instid1(VALU_DEP_1)
	v_cvt_f32_ubyte0_e32 v1, s4
	s_sub_nc_u64 s[16:17], 0, s[4:5]
	s_sub_co_i32 s24, 0, s4
	v_fmac_f32_e64 v1, 0x4f800000, 0
	s_delay_alu instid0(VALU_DEP_1) | instskip(SKIP_1) | instid1(TRANS32_DEP_1)
	v_rcp_f32_e32 v1, v1
	v_nop
	v_mul_f32_e32 v4, 0x5f7ffffc, v1
	s_delay_alu instid0(VALU_DEP_1) | instskip(NEXT) | instid1(VALU_DEP_1)
	v_mul_f32_e32 v1, 0x2f800000, v4
	v_trunc_f32_e32 v5, v1
	s_delay_alu instid0(VALU_DEP_1) | instskip(SKIP_1) | instid1(VALU_DEP_2)
	v_dual_fmac_f32 v4, 0xcf800000, v5 :: v_dual_lshlrev_b32 v1, 3, v0
	v_cvt_u32_f32_e32 v5, v5
	v_cvt_u32_f32_e32 v4, v4
	s_branch .LBB23_3
.LBB23_2:                               ;   in Loop: Header=BB23_3 Depth=1
	s_wait_xcnt 0x0
	s_or_b32 exec_lo, exec_lo, s0
	s_add_co_i32 s23, s1, s23
	s_delay_alu instid0(SALU_CYCLE_1)
	s_cmp_ge_i32 s23, s22
	s_cbranch_scc1 .LBB23_36
.LBB23_3:                               ; =>This Loop Header: Depth=1
                                        ;     Child Loop BB23_19 Depth 2
                                        ;       Child Loop BB23_24 Depth 3
	s_lshl_b32 s18, s23, 8
                                        ; implicit-def: $vgpr10_vgpr11
	s_mov_b32 s0, exec_lo
	v_add_nc_u32_e32 v6, s18, v0
	s_delay_alu instid0(VALU_DEP_1) | instskip(NEXT) | instid1(VALU_DEP_1)
	v_ashrrev_i32_e32 v7, 31, v6
	v_lshlrev_b64_e32 v[8:9], 6, v[6:7]
	s_delay_alu instid0(VALU_DEP_1) | instskip(NEXT) | instid1(VALU_DEP_1)
	v_mov_b32_e32 v3, v9
	v_cmpx_ne_u64_e32 0, v[2:3]
	s_xor_b32 s12, exec_lo, s0
	s_cbranch_execz .LBB23_5
; %bb.4:                                ;   in Loop: Header=BB23_3 Depth=1
	v_mul_u64_e32 v[10:11], s[16:17], v[4:5]
	v_mov_b32_e32 v15, v2
	s_delay_alu instid0(VALU_DEP_2) | instskip(SKIP_1) | instid1(VALU_DEP_4)
	v_mul_hi_u32 v13, v4, v11
	v_mul_lo_u32 v12, v4, v11
	v_mul_hi_u32 v14, v4, v10
	v_mul_lo_u32 v3, v5, v10
	v_mul_hi_u32 v16, v5, v10
	v_mul_hi_u32 v17, v5, v11
	v_mul_lo_u32 v10, v5, v11
	v_add_nc_u64_e32 v[12:13], v[14:15], v[12:13]
	s_delay_alu instid0(VALU_DEP_1) | instskip(NEXT) | instid1(VALU_DEP_2)
	v_add_co_u32 v3, vcc_lo, v12, v3
	v_add_co_ci_u32_e32 v14, vcc_lo, v13, v16, vcc_lo
	v_add_co_ci_u32_e32 v11, vcc_lo, 0, v17, vcc_lo
	v_mov_b32_e32 v17, v2
	s_delay_alu instid0(VALU_DEP_2) | instskip(NEXT) | instid1(VALU_DEP_1)
	v_add_nc_u64_e32 v[10:11], v[14:15], v[10:11]
	v_add_co_u32 v10, vcc_lo, v4, v10
	s_delay_alu instid0(VALU_DEP_1) | instskip(NEXT) | instid1(VALU_DEP_1)
	v_add_co_ci_u32_e64 v11, null, v5, v11, vcc_lo
	v_mul_u64_e32 v[12:13], s[16:17], v[10:11]
	s_delay_alu instid0(VALU_DEP_1) | instskip(SKIP_1) | instid1(VALU_DEP_3)
	v_mul_hi_u32 v15, v10, v13
	v_mul_lo_u32 v14, v10, v13
	v_mul_hi_u32 v16, v10, v12
	v_mul_lo_u32 v3, v11, v12
	v_mul_hi_u32 v18, v11, v12
	v_mul_hi_u32 v19, v11, v13
	v_mul_lo_u32 v12, v11, v13
	v_add_nc_u64_e32 v[14:15], v[16:17], v[14:15]
	s_delay_alu instid0(VALU_DEP_1) | instskip(NEXT) | instid1(VALU_DEP_2)
	v_add_co_u32 v3, vcc_lo, v14, v3
	v_add_co_ci_u32_e32 v16, vcc_lo, v15, v18, vcc_lo
	v_add_co_ci_u32_e32 v13, vcc_lo, 0, v19, vcc_lo
	v_mov_b32_e32 v15, v2
	s_delay_alu instid0(VALU_DEP_2) | instskip(SKIP_1) | instid1(VALU_DEP_2)
	v_add_nc_u64_e32 v[12:13], v[16:17], v[12:13]
	v_mov_b32_e32 v16, v8
	v_add_co_u32 v10, vcc_lo, v10, v12
	s_delay_alu instid0(VALU_DEP_1) | instskip(SKIP_2) | instid1(VALU_DEP_3)
	v_add_co_ci_u32_e64 v14, null, v11, v13, vcc_lo
	v_dual_mov_b32 v12, v9 :: v_dual_mov_b32 v13, v2
	v_mov_b32_e32 v11, v2
	v_mul_u64_e32 v[16:17], v[16:17], v[14:15]
	s_delay_alu instid0(VALU_DEP_2) | instskip(SKIP_2) | instid1(VALU_DEP_1)
	v_mul_u64_e32 v[18:19], v[12:13], v[10:11]
	v_mul_u64_e32 v[12:13], v[12:13], v[14:15]
	v_mul_hi_u32 v10, v8, v10
	v_add_nc_u64_e32 v[10:11], v[10:11], v[16:17]
	s_delay_alu instid0(VALU_DEP_1) | instskip(NEXT) | instid1(VALU_DEP_2)
	v_add_co_u32 v3, vcc_lo, v10, v18
	v_add_co_ci_u32_e32 v14, vcc_lo, v11, v19, vcc_lo
	v_add_co_ci_u32_e32 v13, vcc_lo, 0, v13, vcc_lo
	s_delay_alu instid0(VALU_DEP_1) | instskip(NEXT) | instid1(VALU_DEP_1)
	v_add_nc_u64_e32 v[10:11], v[14:15], v[12:13]
	v_mul_u64_e32 v[12:13], s[4:5], v[10:11]
	s_delay_alu instid0(VALU_DEP_1) | instskip(NEXT) | instid1(VALU_DEP_1)
	v_sub_co_u32 v3, vcc_lo, v8, v12
	v_sub_co_ci_u32_e64 v16, null, v9, v13, vcc_lo
	s_delay_alu instid0(VALU_DEP_2) | instskip(NEXT) | instid1(VALU_DEP_1)
	v_sub_co_u32 v12, vcc_lo, v3, s4
	v_subrev_co_ci_u32_e64 v14, null, 0, v16, vcc_lo
	v_cmp_eq_u32_e64 s0, 0, v16
	s_delay_alu instid0(VALU_DEP_3) | instskip(SKIP_3) | instid1(VALU_DEP_2)
	v_cmp_le_u32_e32 vcc_lo, s4, v12
	v_add_nc_u64_e32 v[12:13], 2, v[10:11]
	v_cndmask_b32_e64 v15, 0, -1, vcc_lo
	v_cmp_eq_u32_e32 vcc_lo, 0, v14
	v_cndmask_b32_e32 v17, -1, v15, vcc_lo
	v_cmp_le_u32_e32 vcc_lo, s4, v3
	v_add_nc_u64_e32 v[14:15], 1, v[10:11]
	v_cndmask_b32_e64 v3, 0, -1, vcc_lo
	s_delay_alu instid0(VALU_DEP_4) | instskip(NEXT) | instid1(VALU_DEP_2)
	v_cmp_ne_u32_e32 vcc_lo, 0, v17
	v_dual_cndmask_b32 v3, -1, v3, s0 :: v_dual_cndmask_b32 v13, v15, v13, vcc_lo
	s_delay_alu instid0(VALU_DEP_4) | instskip(NEXT) | instid1(VALU_DEP_2)
	v_cndmask_b32_e32 v12, v14, v12, vcc_lo
	v_cmp_ne_u32_e32 vcc_lo, 0, v3
	s_delay_alu instid0(VALU_DEP_2)
	v_dual_cndmask_b32 v11, v11, v13 :: v_dual_cndmask_b32 v10, v10, v12
.LBB23_5:                               ;   in Loop: Header=BB23_3 Depth=1
	s_or_saveexec_b32 s0, s12
	v_cvt_f32_u32_e32 v20, s4
	s_xor_b32 exec_lo, exec_lo, s0
	s_cbranch_execz .LBB23_7
; %bb.6:                                ;   in Loop: Header=BB23_3 Depth=1
	s_delay_alu instid0(VALU_DEP_1) | instskip(SKIP_1) | instid1(TRANS32_DEP_1)
	v_rcp_iflag_f32_e32 v3, v20
	v_nop
	v_mul_f32_e32 v3, 0x4f7ffffe, v3
	s_delay_alu instid0(VALU_DEP_1) | instskip(NEXT) | instid1(VALU_DEP_1)
	v_cvt_u32_f32_e32 v3, v3
	v_mul_lo_u32 v10, s24, v3
	s_delay_alu instid0(VALU_DEP_1) | instskip(NEXT) | instid1(VALU_DEP_1)
	v_mul_hi_u32 v10, v3, v10
	v_add_nc_u32_e32 v3, v3, v10
	s_delay_alu instid0(VALU_DEP_1) | instskip(NEXT) | instid1(VALU_DEP_1)
	v_mul_hi_u32 v3, v8, v3
	v_mul_lo_u32 v10, v3, s4
	s_delay_alu instid0(VALU_DEP_1) | instskip(NEXT) | instid1(VALU_DEP_1)
	v_dual_add_nc_u32 v11, 1, v3 :: v_dual_sub_nc_u32 v10, v8, v10
	v_subrev_nc_u32_e32 v12, s4, v10
	v_cmp_le_u32_e32 vcc_lo, s4, v10
	s_delay_alu instid0(VALU_DEP_2) | instskip(NEXT) | instid1(VALU_DEP_1)
	v_dual_cndmask_b32 v10, v10, v12 :: v_dual_cndmask_b32 v3, v3, v11
	v_cmp_le_u32_e32 vcc_lo, s4, v10
	s_delay_alu instid0(VALU_DEP_2) | instskip(NEXT) | instid1(VALU_DEP_1)
	v_add_nc_u32_e32 v11, 1, v3
	v_dual_cndmask_b32 v10, v3, v11 :: v_dual_mov_b32 v11, v2
.LBB23_7:                               ;   in Loop: Header=BB23_3 Depth=1
	s_or_b32 exec_lo, exec_lo, s0
	v_add_nc_u64_e32 v[12:13], 64, v[8:9]
                                        ; implicit-def: $vgpr14_vgpr15
	s_mov_b32 s0, exec_lo
	s_delay_alu instid0(VALU_DEP_1) | instskip(NEXT) | instid1(VALU_DEP_1)
	v_mov_b32_e32 v3, v13
	v_cmpx_ne_u64_e32 0, v[2:3]
	s_xor_b32 s12, exec_lo, s0
	s_cbranch_execz .LBB23_9
; %bb.8:                                ;   in Loop: Header=BB23_3 Depth=1
	v_mul_u64_e32 v[14:15], s[16:17], v[4:5]
	s_wait_dscnt 0x0
	v_dual_mov_b32 v19, v2 :: v_dual_mov_b32 v23, v2
	s_delay_alu instid0(VALU_DEP_2) | instskip(SKIP_1) | instid1(VALU_DEP_4)
	v_mul_hi_u32 v17, v4, v15
	v_mul_lo_u32 v16, v4, v15
	v_mul_hi_u32 v18, v4, v14
	v_mul_lo_u32 v3, v5, v14
	v_mul_hi_u32 v9, v5, v14
	v_mul_hi_u32 v21, v5, v15
	v_mul_lo_u32 v14, v5, v15
	v_add_nc_u64_e32 v[16:17], v[18:19], v[16:17]
	s_delay_alu instid0(VALU_DEP_1) | instskip(NEXT) | instid1(VALU_DEP_2)
	v_add_co_u32 v3, vcc_lo, v16, v3
	v_add_co_ci_u32_e32 v18, vcc_lo, v17, v9, vcc_lo
	v_add_co_ci_u32_e32 v15, vcc_lo, 0, v21, vcc_lo
	s_delay_alu instid0(VALU_DEP_1) | instskip(NEXT) | instid1(VALU_DEP_1)
	v_add_nc_u64_e32 v[14:15], v[18:19], v[14:15]
	v_add_co_u32 v14, vcc_lo, v4, v14
	s_delay_alu instid0(VALU_DEP_1) | instskip(NEXT) | instid1(VALU_DEP_1)
	v_add_co_ci_u32_e64 v15, null, v5, v15, vcc_lo
	v_mul_u64_e32 v[16:17], s[16:17], v[14:15]
	s_delay_alu instid0(VALU_DEP_1) | instskip(SKIP_1) | instid1(VALU_DEP_3)
	v_mul_hi_u32 v19, v14, v17
	v_mul_lo_u32 v18, v14, v17
	v_mul_hi_u32 v22, v14, v16
	v_mul_lo_u32 v3, v15, v16
	v_mul_hi_u32 v9, v15, v16
	v_mul_hi_u32 v21, v15, v17
	v_mul_lo_u32 v16, v15, v17
	v_add_nc_u64_e32 v[18:19], v[22:23], v[18:19]
	s_delay_alu instid0(VALU_DEP_1) | instskip(NEXT) | instid1(VALU_DEP_2)
	v_add_co_u32 v3, vcc_lo, v18, v3
	v_add_co_ci_u32_e32 v22, vcc_lo, v19, v9, vcc_lo
	v_add_co_ci_u32_e32 v17, vcc_lo, 0, v21, vcc_lo
	v_mov_b32_e32 v19, v2
	s_delay_alu instid0(VALU_DEP_2) | instskip(SKIP_1) | instid1(VALU_DEP_2)
	v_add_nc_u64_e32 v[16:17], v[22:23], v[16:17]
	v_mov_b32_e32 v22, v12
	v_add_co_u32 v14, vcc_lo, v14, v16
	s_delay_alu instid0(VALU_DEP_1) | instskip(SKIP_2) | instid1(VALU_DEP_3)
	v_add_co_ci_u32_e64 v18, null, v15, v17, vcc_lo
	v_dual_mov_b32 v16, v13 :: v_dual_mov_b32 v17, v2
	v_mov_b32_e32 v15, v2
	v_mul_u64_e32 v[22:23], v[22:23], v[18:19]
	s_delay_alu instid0(VALU_DEP_2) | instskip(SKIP_2) | instid1(VALU_DEP_1)
	v_mul_u64_e32 v[26:27], v[16:17], v[14:15]
	v_mul_u64_e32 v[16:17], v[16:17], v[18:19]
	v_mul_hi_u32 v14, v12, v14
	v_add_nc_u64_e32 v[14:15], v[14:15], v[22:23]
	s_delay_alu instid0(VALU_DEP_1) | instskip(NEXT) | instid1(VALU_DEP_2)
	v_add_co_u32 v3, vcc_lo, v14, v26
	v_add_co_ci_u32_e32 v18, vcc_lo, v15, v27, vcc_lo
	v_add_co_ci_u32_e32 v17, vcc_lo, 0, v17, vcc_lo
	s_delay_alu instid0(VALU_DEP_1) | instskip(NEXT) | instid1(VALU_DEP_1)
	v_add_nc_u64_e32 v[14:15], v[18:19], v[16:17]
	v_mul_u64_e32 v[16:17], s[4:5], v[14:15]
	s_delay_alu instid0(VALU_DEP_1) | instskip(NEXT) | instid1(VALU_DEP_1)
	v_sub_co_u32 v3, vcc_lo, v12, v16
	v_sub_co_ci_u32_e64 v9, null, v13, v17, vcc_lo
	s_delay_alu instid0(VALU_DEP_2) | instskip(NEXT) | instid1(VALU_DEP_1)
	v_sub_co_u32 v16, vcc_lo, v3, s4
	v_subrev_co_ci_u32_e64 v18, null, 0, v9, vcc_lo
	v_cmp_eq_u32_e64 s0, 0, v9
	s_delay_alu instid0(VALU_DEP_3) | instskip(SKIP_3) | instid1(VALU_DEP_2)
	v_cmp_le_u32_e32 vcc_lo, s4, v16
	v_add_nc_u64_e32 v[16:17], 2, v[14:15]
	v_cndmask_b32_e64 v19, 0, -1, vcc_lo
	v_cmp_eq_u32_e32 vcc_lo, 0, v18
	v_cndmask_b32_e32 v21, -1, v19, vcc_lo
	v_cmp_le_u32_e32 vcc_lo, s4, v3
	v_add_nc_u64_e32 v[18:19], 1, v[14:15]
	v_cndmask_b32_e64 v3, 0, -1, vcc_lo
	s_delay_alu instid0(VALU_DEP_4) | instskip(NEXT) | instid1(VALU_DEP_2)
	v_cmp_ne_u32_e32 vcc_lo, 0, v21
	v_dual_cndmask_b32 v3, -1, v3, s0 :: v_dual_cndmask_b32 v9, v19, v17, vcc_lo
	s_delay_alu instid0(VALU_DEP_4) | instskip(NEXT) | instid1(VALU_DEP_2)
	v_cndmask_b32_e32 v16, v18, v16, vcc_lo
	v_cmp_ne_u32_e32 vcc_lo, 0, v3
	s_delay_alu instid0(VALU_DEP_2)
	v_dual_cndmask_b32 v15, v15, v9 :: v_dual_cndmask_b32 v14, v14, v16
.LBB23_9:                               ;   in Loop: Header=BB23_3 Depth=1
	s_and_not1_saveexec_b32 s0, s12
	s_cbranch_execz .LBB23_11
; %bb.10:                               ;   in Loop: Header=BB23_3 Depth=1
	v_rcp_iflag_f32_e32 v3, v20
	v_nop
	s_delay_alu instid0(TRANS32_DEP_1) | instskip(NEXT) | instid1(VALU_DEP_1)
	v_mul_f32_e32 v3, 0x4f7ffffe, v3
	v_cvt_u32_f32_e32 v3, v3
	s_delay_alu instid0(VALU_DEP_1) | instskip(NEXT) | instid1(VALU_DEP_1)
	v_mul_lo_u32 v9, s24, v3
	v_mul_hi_u32 v9, v3, v9
	s_delay_alu instid0(VALU_DEP_1) | instskip(NEXT) | instid1(VALU_DEP_1)
	v_add_nc_u32_e32 v3, v3, v9
	v_mul_hi_u32 v3, v12, v3
	s_delay_alu instid0(VALU_DEP_1) | instskip(NEXT) | instid1(VALU_DEP_1)
	v_mul_lo_u32 v9, v3, s4
	v_dual_add_nc_u32 v14, 1, v3 :: v_dual_sub_nc_u32 v9, v12, v9
	s_delay_alu instid0(VALU_DEP_1) | instskip(SKIP_1) | instid1(VALU_DEP_2)
	v_subrev_nc_u32_e32 v15, s4, v9
	v_cmp_le_u32_e32 vcc_lo, s4, v9
	v_dual_cndmask_b32 v9, v9, v15, vcc_lo :: v_dual_mov_b32 v15, v2
	s_delay_alu instid0(VALU_DEP_4) | instskip(NEXT) | instid1(VALU_DEP_2)
	v_cndmask_b32_e32 v3, v3, v14, vcc_lo
	v_cmp_le_u32_e32 vcc_lo, s4, v9
	s_delay_alu instid0(VALU_DEP_2) | instskip(NEXT) | instid1(VALU_DEP_1)
	v_add_nc_u32_e32 v14, 1, v3
	v_cndmask_b32_e32 v14, v3, v14, vcc_lo
.LBB23_11:                              ;   in Loop: Header=BB23_3 Depth=1
	s_or_b32 exec_lo, exec_lo, s0
	s_ashr_i32 s19, s18, 31
	s_delay_alu instid0(SALU_CYCLE_1) | instskip(NEXT) | instid1(SALU_CYCLE_1)
	s_lshl_b64 s[20:21], s[18:19], 6
	s_and_b64 s[26:27], s[20:21], 0xffffffff00000000
	s_delay_alu instid0(SALU_CYCLE_1)
	s_cmp_lg_u64 s[26:27], 0
	s_cbranch_scc0 .LBB23_34
; %bb.12:                               ;   in Loop: Header=BB23_3 Depth=1
	v_mul_u64_e32 v[16:17], s[16:17], v[4:5]
	s_wait_dscnt 0x0
	v_dual_mov_b32 v23, v2 :: v_dual_mov_b32 v27, v2
	s_delay_alu instid0(VALU_DEP_2) | instskip(SKIP_1) | instid1(VALU_DEP_4)
	v_mul_hi_u32 v19, v4, v17
	v_mul_lo_u32 v18, v4, v17
	v_mul_hi_u32 v22, v4, v16
	v_mul_lo_u32 v3, v5, v16
	v_mul_hi_u32 v9, v5, v16
	v_mul_hi_u32 v21, v5, v17
	v_mul_lo_u32 v16, v5, v17
	v_add_nc_u64_e32 v[18:19], v[22:23], v[18:19]
	s_delay_alu instid0(VALU_DEP_1) | instskip(NEXT) | instid1(VALU_DEP_2)
	v_add_co_u32 v3, vcc_lo, v18, v3
	v_add_co_ci_u32_e32 v22, vcc_lo, v19, v9, vcc_lo
	v_add_co_ci_u32_e32 v17, vcc_lo, 0, v21, vcc_lo
	s_delay_alu instid0(VALU_DEP_1) | instskip(NEXT) | instid1(VALU_DEP_1)
	v_add_nc_u64_e32 v[16:17], v[22:23], v[16:17]
	v_add_co_u32 v16, vcc_lo, v4, v16
	s_delay_alu instid0(VALU_DEP_1) | instskip(NEXT) | instid1(VALU_DEP_1)
	v_add_co_ci_u32_e64 v17, null, v5, v17, vcc_lo
	v_mul_u64_e32 v[18:19], s[16:17], v[16:17]
	s_delay_alu instid0(VALU_DEP_1) | instskip(SKIP_1) | instid1(VALU_DEP_3)
	v_mul_hi_u32 v23, v16, v19
	v_mul_lo_u32 v22, v16, v19
	v_mul_hi_u32 v26, v16, v18
	v_mul_lo_u32 v3, v17, v18
	v_mul_hi_u32 v9, v17, v18
	v_mul_hi_u32 v21, v17, v19
	v_mul_lo_u32 v18, v17, v19
	v_add_nc_u64_e32 v[22:23], v[26:27], v[22:23]
	s_delay_alu instid0(VALU_DEP_1) | instskip(NEXT) | instid1(VALU_DEP_2)
	v_add_co_u32 v3, vcc_lo, v22, v3
	v_add_co_ci_u32_e32 v26, vcc_lo, v23, v9, vcc_lo
	v_add_co_ci_u32_e32 v19, vcc_lo, 0, v21, vcc_lo
	s_delay_alu instid0(VALU_DEP_1) | instskip(NEXT) | instid1(VALU_DEP_1)
	v_add_nc_u64_e32 v[18:19], v[26:27], v[18:19]
	v_add_co_u32 v3, vcc_lo, v16, v18
	s_delay_alu instid0(VALU_DEP_1) | instskip(SKIP_1) | instid1(VALU_DEP_3)
	v_add_co_ci_u32_e64 v9, null, v17, v19, vcc_lo
	v_mov_b32_e32 v19, v2
	v_mul_hi_u32 v18, s20, v3
	v_mul_lo_u32 v21, s21, v3
	s_delay_alu instid0(VALU_DEP_4) | instskip(SKIP_4) | instid1(VALU_DEP_4)
	v_mul_hi_u32 v17, s20, v9
	v_mul_lo_u32 v16, s20, v9
	v_mul_hi_u32 v3, s21, v3
	v_mul_hi_u32 v23, s21, v9
	v_mul_lo_u32 v22, s21, v9
	v_add_nc_u64_e32 v[16:17], v[18:19], v[16:17]
	s_delay_alu instid0(VALU_DEP_1) | instskip(NEXT) | instid1(VALU_DEP_2)
	v_add_co_u32 v9, vcc_lo, v16, v21
	v_add_co_ci_u32_e32 v18, vcc_lo, v17, v3, vcc_lo
	v_add_co_ci_u32_e32 v23, vcc_lo, 0, v23, vcc_lo
	s_delay_alu instid0(VALU_DEP_1) | instskip(NEXT) | instid1(VALU_DEP_1)
	v_add_nc_u64_e32 v[16:17], v[18:19], v[22:23]
	v_mul_u64_e32 v[18:19], s[4:5], v[16:17]
	s_delay_alu instid0(VALU_DEP_1) | instskip(NEXT) | instid1(VALU_DEP_1)
	v_sub_co_u32 v3, vcc_lo, s20, v18
	v_sub_co_ci_u32_e64 v9, null, s21, v19, vcc_lo
	s_delay_alu instid0(VALU_DEP_2) | instskip(NEXT) | instid1(VALU_DEP_1)
	v_sub_co_u32 v18, vcc_lo, v3, s4
	v_subrev_co_ci_u32_e64 v21, null, 0, v9, vcc_lo
	v_cmp_eq_u32_e64 s0, 0, v9
	s_delay_alu instid0(VALU_DEP_3) | instskip(SKIP_3) | instid1(VALU_DEP_2)
	v_cmp_le_u32_e32 vcc_lo, s4, v18
	v_add_nc_u64_e32 v[18:19], 1, v[16:17]
	v_cndmask_b32_e64 v22, 0, -1, vcc_lo
	v_cmp_eq_u32_e32 vcc_lo, 0, v21
	v_cndmask_b32_e32 v21, -1, v22, vcc_lo
	v_cmp_le_u32_e32 vcc_lo, s4, v3
	v_add_nc_u64_e32 v[22:23], 2, v[16:17]
	v_cndmask_b32_e64 v3, 0, -1, vcc_lo
	s_delay_alu instid0(VALU_DEP_4) | instskip(NEXT) | instid1(VALU_DEP_2)
	v_cmp_ne_u32_e32 vcc_lo, 0, v21
	v_dual_cndmask_b32 v3, -1, v3, s0 :: v_dual_cndmask_b32 v9, v18, v22, vcc_lo
	s_delay_alu instid0(VALU_DEP_4) | instskip(NEXT) | instid1(VALU_DEP_2)
	v_cndmask_b32_e32 v18, v19, v23, vcc_lo
	v_cmp_ne_u32_e32 vcc_lo, 0, v3
	s_delay_alu instid0(VALU_DEP_2)
	v_dual_cndmask_b32 v16, v16, v9 :: v_dual_cndmask_b32 v17, v17, v18
	s_cbranch_execnz .LBB23_14
.LBB23_13:                              ;   in Loop: Header=BB23_3 Depth=1
	v_rcp_iflag_f32_e32 v3, v20
	v_nop
	s_delay_alu instid0(TRANS32_DEP_1) | instskip(NEXT) | instid1(VALU_DEP_1)
	v_mul_f32_e32 v3, 0x4f7ffffe, v3
	v_cvt_u32_f32_e32 v3, v3
	s_delay_alu instid0(VALU_DEP_1) | instskip(SKIP_1) | instid1(SALU_CYCLE_1)
	v_readfirstlane_b32 s0, v3
	s_mul_i32 s12, s24, s0
	s_mul_hi_u32 s12, s0, s12
	s_delay_alu instid0(SALU_CYCLE_1) | instskip(NEXT) | instid1(SALU_CYCLE_1)
	s_add_co_i32 s0, s0, s12
	s_mul_hi_u32 s0, s20, s0
	s_delay_alu instid0(SALU_CYCLE_1) | instskip(SKIP_2) | instid1(SALU_CYCLE_1)
	s_mul_i32 s12, s0, s4
	s_add_co_i32 s19, s0, 1
	s_sub_co_i32 s12, s20, s12
	s_sub_co_i32 s20, s12, s4
	s_cmp_ge_u32 s12, s4
	s_cselect_b32 s0, s19, s0
	s_cselect_b32 s12, s20, s12
	s_add_co_i32 s19, s0, 1
	s_cmp_ge_u32 s12, s4
	s_cselect_b32 s12, s19, s0
	s_delay_alu instid0(SALU_CYCLE_1)
	v_mov_b64_e32 v[16:17], s[12:13]
.LBB23_14:                              ;   in Loop: Header=BB23_3 Depth=1
	s_addk_co_i32 s18, 0x100
	s_delay_alu instid0(SALU_CYCLE_1) | instskip(NEXT) | instid1(SALU_CYCLE_1)
	s_ashr_i32 s19, s18, 31
	s_lshl_b64 s[18:19], s[18:19], 6
	s_delay_alu instid0(SALU_CYCLE_1) | instskip(NEXT) | instid1(SALU_CYCLE_1)
	s_and_b64 s[20:21], s[18:19], 0xffffffff00000000
	s_cmp_lg_u64 s[20:21], 0
	s_cbranch_scc0 .LBB23_35
; %bb.15:                               ;   in Loop: Header=BB23_3 Depth=1
	v_mul_u64_e32 v[18:19], s[16:17], v[4:5]
	v_dual_mov_b32 v27, v2 :: v_dual_mov_b32 v29, v2
	s_wait_dscnt 0x0
	s_delay_alu instid0(VALU_DEP_2) | instskip(SKIP_1) | instid1(VALU_DEP_4)
	v_mul_hi_u32 v23, v4, v19
	v_mul_lo_u32 v22, v4, v19
	v_mul_hi_u32 v26, v4, v18
	v_mul_lo_u32 v3, v5, v18
	v_mul_hi_u32 v9, v5, v18
	v_mul_hi_u32 v21, v5, v19
	v_mul_lo_u32 v18, v5, v19
	v_add_nc_u64_e32 v[22:23], v[26:27], v[22:23]
	s_delay_alu instid0(VALU_DEP_1) | instskip(NEXT) | instid1(VALU_DEP_2)
	v_add_co_u32 v3, vcc_lo, v22, v3
	v_add_co_ci_u32_e32 v26, vcc_lo, v23, v9, vcc_lo
	v_add_co_ci_u32_e32 v19, vcc_lo, 0, v21, vcc_lo
	s_delay_alu instid0(VALU_DEP_1) | instskip(NEXT) | instid1(VALU_DEP_1)
	v_add_nc_u64_e32 v[18:19], v[26:27], v[18:19]
	v_add_co_u32 v18, vcc_lo, v4, v18
	s_delay_alu instid0(VALU_DEP_1) | instskip(NEXT) | instid1(VALU_DEP_1)
	v_add_co_ci_u32_e64 v19, null, v5, v19, vcc_lo
	v_mul_u64_e32 v[22:23], s[16:17], v[18:19]
	s_delay_alu instid0(VALU_DEP_1) | instskip(SKIP_1) | instid1(VALU_DEP_3)
	v_mul_hi_u32 v27, v18, v23
	v_mul_lo_u32 v26, v18, v23
	v_mul_hi_u32 v28, v18, v22
	v_mul_lo_u32 v3, v19, v22
	v_mul_hi_u32 v9, v19, v22
	v_mul_hi_u32 v21, v19, v23
	v_mul_lo_u32 v22, v19, v23
	v_add_nc_u64_e32 v[26:27], v[28:29], v[26:27]
	s_delay_alu instid0(VALU_DEP_1) | instskip(NEXT) | instid1(VALU_DEP_2)
	v_add_co_u32 v3, vcc_lo, v26, v3
	v_add_co_ci_u32_e32 v28, vcc_lo, v27, v9, vcc_lo
	v_add_co_ci_u32_e32 v23, vcc_lo, 0, v21, vcc_lo
	s_delay_alu instid0(VALU_DEP_1) | instskip(NEXT) | instid1(VALU_DEP_1)
	v_add_nc_u64_e32 v[22:23], v[28:29], v[22:23]
	v_add_co_u32 v3, vcc_lo, v18, v22
	s_delay_alu instid0(VALU_DEP_1) | instskip(SKIP_1) | instid1(VALU_DEP_3)
	v_add_co_ci_u32_e64 v9, null, v19, v23, vcc_lo
	v_mov_b32_e32 v23, v2
	v_mul_hi_u32 v22, s18, v3
	v_mul_lo_u32 v21, s19, v3
	s_delay_alu instid0(VALU_DEP_4) | instskip(SKIP_4) | instid1(VALU_DEP_4)
	v_mul_hi_u32 v19, s18, v9
	v_mul_lo_u32 v18, s18, v9
	v_mul_hi_u32 v3, s19, v3
	v_mul_hi_u32 v25, s19, v9
	v_mul_lo_u32 v26, s19, v9
	v_add_nc_u64_e32 v[18:19], v[22:23], v[18:19]
	s_delay_alu instid0(VALU_DEP_1) | instskip(NEXT) | instid1(VALU_DEP_2)
	v_add_co_u32 v9, vcc_lo, v18, v21
	v_add_co_ci_u32_e32 v22, vcc_lo, v19, v3, vcc_lo
	v_add_co_ci_u32_e32 v27, vcc_lo, 0, v25, vcc_lo
	s_delay_alu instid0(VALU_DEP_1) | instskip(NEXT) | instid1(VALU_DEP_1)
	v_add_nc_u64_e32 v[18:19], v[22:23], v[26:27]
	v_mul_u64_e32 v[22:23], s[4:5], v[18:19]
	v_add_nc_u64_e32 v[26:27], 2, v[18:19]
	s_delay_alu instid0(VALU_DEP_2) | instskip(NEXT) | instid1(VALU_DEP_1)
	v_sub_co_u32 v3, vcc_lo, s18, v22
	v_sub_co_ci_u32_e64 v9, null, s19, v23, vcc_lo
	v_add_nc_u64_e32 v[22:23], 1, v[18:19]
	s_delay_alu instid0(VALU_DEP_3) | instskip(NEXT) | instid1(VALU_DEP_1)
	v_sub_co_u32 v21, vcc_lo, v3, s4
	v_subrev_co_ci_u32_e64 v25, null, 0, v9, vcc_lo
	v_cmp_eq_u32_e64 s0, 0, v9
	s_delay_alu instid0(VALU_DEP_3) | instskip(SKIP_1) | instid1(VALU_DEP_4)
	v_cmp_le_u32_e32 vcc_lo, s4, v21
	v_cndmask_b32_e64 v21, 0, -1, vcc_lo
	v_cmp_eq_u32_e32 vcc_lo, 0, v25
	s_delay_alu instid0(VALU_DEP_2) | instskip(SKIP_2) | instid1(VALU_DEP_3)
	v_cndmask_b32_e32 v21, -1, v21, vcc_lo
	v_cmp_le_u32_e32 vcc_lo, s4, v3
	v_cndmask_b32_e64 v3, 0, -1, vcc_lo
	v_cmp_ne_u32_e32 vcc_lo, 0, v21
	s_delay_alu instid0(VALU_DEP_2) | instskip(SKIP_1) | instid1(VALU_DEP_2)
	v_dual_cndmask_b32 v3, -1, v3, s0 :: v_dual_cndmask_b32 v9, v22, v26, vcc_lo
	v_cndmask_b32_e32 v21, v23, v27, vcc_lo
	v_cmp_ne_u32_e32 vcc_lo, 0, v3
	s_delay_alu instid0(VALU_DEP_3) | instskip(NEXT) | instid1(VALU_DEP_3)
	v_cndmask_b32_e32 v18, v18, v9, vcc_lo
	v_cndmask_b32_e32 v19, v19, v21, vcc_lo
	s_cbranch_execnz .LBB23_17
.LBB23_16:                              ;   in Loop: Header=BB23_3 Depth=1
	v_rcp_iflag_f32_e32 v3, v20
	v_nop
	s_delay_alu instid0(TRANS32_DEP_1) | instskip(NEXT) | instid1(VALU_DEP_1)
	v_mul_f32_e32 v3, 0x4f7ffffe, v3
	v_cvt_u32_f32_e32 v3, v3
	s_delay_alu instid0(VALU_DEP_1) | instskip(SKIP_1) | instid1(SALU_CYCLE_1)
	v_readfirstlane_b32 s0, v3
	s_mul_i32 s12, s24, s0
	s_mul_hi_u32 s12, s0, s12
	s_delay_alu instid0(SALU_CYCLE_1) | instskip(NEXT) | instid1(SALU_CYCLE_1)
	s_add_co_i32 s0, s0, s12
	s_mul_hi_u32 s0, s18, s0
	s_delay_alu instid0(SALU_CYCLE_1) | instskip(SKIP_2) | instid1(SALU_CYCLE_1)
	s_mul_i32 s12, s0, s4
	s_add_co_i32 s20, s0, 1
	s_sub_co_i32 s12, s18, s12
	s_sub_co_i32 s21, s12, s4
	s_cmp_ge_u32 s12, s4
	s_cselect_b32 s0, s20, s0
	s_cselect_b32 s12, s21, s12
	s_add_co_i32 s20, s0, 1
	s_cmp_ge_u32 s12, s4
	s_cselect_b32 s12, s20, s0
	s_delay_alu instid0(SALU_CYCLE_1)
	v_mov_b64_e32 v[18:19], s[12:13]
.LBB23_17:                              ;   in Loop: Header=BB23_3 Depth=1
	s_delay_alu instid0(VALU_DEP_1) | instskip(SKIP_4) | instid1(VALU_DEP_4)
	v_mul_u64_e32 v[20:21], s[4:5], v[18:19]
	s_wait_dscnt 0x0
	v_mov_b32_e32 v23, s13
	v_and_b32_e32 v16, 0xffffff00, v16
	v_min_u64 v[10:11], s[14:15], v[10:11]
	v_sub_nc_u64_e32 v[20:21], s[18:19], v[20:21]
	s_delay_alu instid0(VALU_DEP_1) | instskip(SKIP_2) | instid1(VALU_DEP_1)
	v_cmp_ne_u64_e32 vcc_lo, 0, v[20:21]
	v_mov_b32_e32 v21, v2
	v_cndmask_b32_e64 v22, 0, 1, vcc_lo
	v_add_nc_u64_e32 v[18:19], v[18:19], v[22:23]
	s_delay_alu instid0(VALU_DEP_1) | instskip(NEXT) | instid1(VALU_DEP_1)
	v_and_b32_e32 v20, 0xff, v18
	v_cmp_eq_u64_e32 vcc_lo, 0, v[20:21]
	v_cndmask_b32_e64 v20, 0x100, 0, vcc_lo
	s_delay_alu instid0(VALU_DEP_1) | instskip(SKIP_2) | instid1(VALU_DEP_3)
	v_add_nc_u64_e32 v[18:19], v[20:21], v[18:19]
	v_min_u64 v[20:21], s[14:15], v[16:17]
	v_mov_b64_e32 v[16:17], 0
	v_and_b32_e32 v18, 0xffffff00, v18
	s_delay_alu instid0(VALU_DEP_1) | instskip(NEXT) | instid1(VALU_DEP_1)
	v_min_u64 v[18:19], s[14:15], v[18:19]
	v_cmp_ge_i32_e32 vcc_lo, v20, v18
	s_cbranch_vccnz .LBB23_32
; %bb.18:                               ;   in Loop: Header=BB23_3 Depth=1
	v_mul_u64_e32 v[16:17], s[4:5], v[14:15]
	s_delay_alu instid0(VALU_DEP_1) | instskip(SKIP_1) | instid1(VALU_DEP_2)
	v_sub_nc_u64_e32 v[12:13], v[12:13], v[16:17]
	v_mov_b64_e32 v[16:17], 0
	v_cmp_ne_u64_e32 vcc_lo, 0, v[12:13]
	v_mov_b32_e32 v13, s13
	v_cndmask_b32_e64 v12, 0, 1, vcc_lo
	s_delay_alu instid0(VALU_DEP_1) | instskip(NEXT) | instid1(VALU_DEP_1)
	v_add_nc_u64_e32 v[12:13], v[14:15], v[12:13]
	v_min_u64 v[12:13], s[14:15], v[12:13]
.LBB23_19:                              ;   Parent Loop BB23_3 Depth=1
                                        ; =>  This Loop Header: Depth=2
                                        ;       Child Loop BB23_24 Depth 3
	s_delay_alu instid0(VALU_DEP_1) | instskip(SKIP_3) | instid1(VALU_DEP_1)
	v_add_nc_u32_e32 v14, v20, v0
	s_mov_b32 s0, exec_lo
	s_barrier_signal -1
	s_barrier_wait -1
	v_ashrrev_i32_e32 v15, 31, v14
	s_delay_alu instid0(VALU_DEP_1)
	v_cmpx_gt_u64_e64 s[2:3], v[14:15]
	s_cbranch_execz .LBB23_21
; %bb.20:                               ;   in Loop: Header=BB23_19 Depth=2
	v_lshl_add_u64 v[14:15], v[14:15], 3, s[10:11]
	global_load_b64 v[14:15], v[14:15], off
	s_wait_loadcnt 0x0
	s_wait_kmcnt 0x0
	s_wait_xcnt 0x0
	v_sub_nc_u64_e64 v[14:15], v[14:15], s[6:7]
	ds_store_b64 v1, v[14:15]
.LBB23_21:                              ;   in Loop: Header=BB23_19 Depth=2
	s_or_b32 exec_lo, exec_lo, s0
	v_add_nc_u32_e32 v3, 0x100, v20
	v_max_i32_e32 v9, v10, v20
	s_mov_b32 s0, exec_lo
	s_wait_dscnt 0x0
	s_barrier_signal -1
	v_min_i32_e32 v11, v12, v3
	s_barrier_wait -1
	s_delay_alu instid0(VALU_DEP_1)
	v_cmpx_lt_i32_e64 v9, v11
	s_cbranch_execz .LBB23_29
; %bb.22:                               ;   in Loop: Header=BB23_19 Depth=2
	s_mov_b32 s12, 0
	s_branch .LBB23_24
.LBB23_23:                              ;   in Loop: Header=BB23_24 Depth=3
	s_or_b32 exec_lo, exec_lo, s18
	s_delay_alu instid0(VALU_DEP_1) | instskip(NEXT) | instid1(VALU_DEP_2)
	v_dual_add_nc_u32 v9, 1, v9 :: v_dual_bitop2_b32 v16, v14, v16 bitop3:0x54
	v_or_b32_e32 v17, v15, v17
	s_delay_alu instid0(VALU_DEP_2) | instskip(SKIP_1) | instid1(SALU_CYCLE_1)
	v_cmp_ge_i32_e32 vcc_lo, v9, v11
	s_or_b32 s12, vcc_lo, s12
	s_and_not1_b32 exec_lo, exec_lo, s12
	s_cbranch_execz .LBB23_28
.LBB23_24:                              ;   Parent Loop BB23_3 Depth=1
                                        ;     Parent Loop BB23_19 Depth=2
                                        ; =>    This Inner Loop Header: Depth=3
	v_sub_nc_u32_e32 v13, v9, v20
	v_mul_lo_u32 v14, v9, v24
	s_mov_b32 s18, exec_lo
	s_delay_alu instid0(VALU_DEP_2) | instskip(SKIP_3) | instid1(VALU_DEP_1)
	v_lshlrev_b32_e32 v13, 3, v13
	s_wait_dscnt 0x0
	ds_load_b64 v[22:23], v13
	v_sub_nc_u32_e32 v13, v14, v8
                                        ; implicit-def: $vgpr14_vgpr15
	v_cmpx_gt_i32_e32 1, v13
	s_xor_b32 s18, exec_lo, s18
	s_cbranch_execz .LBB23_26
; %bb.25:                               ;   in Loop: Header=BB23_24 Depth=3
	v_sub_nc_u32_e32 v13, 0, v13
	s_wait_dscnt 0x0
	s_delay_alu instid0(VALU_DEP_1)
	v_lshrrev_b64 v[14:15], v13, v[22:23]
                                        ; implicit-def: $vgpr13
                                        ; implicit-def: $vgpr22_vgpr23
.LBB23_26:                              ;   in Loop: Header=BB23_24 Depth=3
	s_and_not1_saveexec_b32 s18, s18
	s_cbranch_execz .LBB23_23
; %bb.27:                               ;   in Loop: Header=BB23_24 Depth=3
	s_wait_dscnt 0x0
	v_lshlrev_b64_e32 v[14:15], v13, v[22:23]
	s_branch .LBB23_23
.LBB23_28:                              ;   in Loop: Header=BB23_19 Depth=2
	s_or_b32 exec_lo, exec_lo, s12
.LBB23_29:                              ;   in Loop: Header=BB23_19 Depth=2
	s_delay_alu instid0(SALU_CYCLE_1)
	s_or_b32 exec_lo, exec_lo, s0
; %bb.30:                               ;   in Loop: Header=BB23_19 Depth=2
	v_cmp_lt_i32_e32 vcc_lo, v3, v18
	s_cbranch_vccz .LBB23_32
; %bb.31:                               ;   in Loop: Header=BB23_19 Depth=2
	v_mov_b32_e32 v20, v3
	s_branch .LBB23_19
.LBB23_32:                              ;   in Loop: Header=BB23_3 Depth=1
	v_ashrrev_i32_e32 v11, 31, v10
	s_mov_b32 s0, exec_lo
	s_delay_alu instid0(VALU_DEP_1)
	v_cmpx_gt_u64_e64 s[2:3], v[10:11]
	s_cbranch_execz .LBB23_2
; %bb.33:                               ;   in Loop: Header=BB23_3 Depth=1
	v_lshl_add_u64 v[6:7], v[6:7], 3, s[8:9]
	global_store_b64 v[6:7], v[16:17], off
	s_branch .LBB23_2
.LBB23_34:                              ;   in Loop: Header=BB23_3 Depth=1
                                        ; implicit-def: $vgpr16_vgpr17
	s_branch .LBB23_13
.LBB23_35:                              ;   in Loop: Header=BB23_3 Depth=1
                                        ; implicit-def: $vgpr18_vgpr19
	s_branch .LBB23_16
.LBB23_36:
	s_endpgm
	.section	.rodata,"a",@progbits
	.p2align	6, 0x0
	.amdhsa_kernel _Z13bitPackKernelIymEvPKhPKT_PT0_S4_PKm
		.amdhsa_group_segment_fixed_size 2048
		.amdhsa_private_segment_fixed_size 0
		.amdhsa_kernarg_size 296
		.amdhsa_user_sgpr_count 2
		.amdhsa_user_sgpr_dispatch_ptr 0
		.amdhsa_user_sgpr_queue_ptr 0
		.amdhsa_user_sgpr_kernarg_segment_ptr 1
		.amdhsa_user_sgpr_dispatch_id 0
		.amdhsa_user_sgpr_kernarg_preload_length 0
		.amdhsa_user_sgpr_kernarg_preload_offset 0
		.amdhsa_user_sgpr_private_segment_size 0
		.amdhsa_wavefront_size32 1
		.amdhsa_uses_dynamic_stack 0
		.amdhsa_enable_private_segment 0
		.amdhsa_system_sgpr_workgroup_id_x 1
		.amdhsa_system_sgpr_workgroup_id_y 0
		.amdhsa_system_sgpr_workgroup_id_z 0
		.amdhsa_system_sgpr_workgroup_info 0
		.amdhsa_system_vgpr_workitem_id 0
		.amdhsa_next_free_vgpr 30
		.amdhsa_next_free_sgpr 28
		.amdhsa_named_barrier_count 0
		.amdhsa_reserve_vcc 1
		.amdhsa_float_round_mode_32 0
		.amdhsa_float_round_mode_16_64 0
		.amdhsa_float_denorm_mode_32 3
		.amdhsa_float_denorm_mode_16_64 3
		.amdhsa_fp16_overflow 0
		.amdhsa_memory_ordered 1
		.amdhsa_forward_progress 1
		.amdhsa_inst_pref_size 27
		.amdhsa_round_robin_scheduling 0
		.amdhsa_exception_fp_ieee_invalid_op 0
		.amdhsa_exception_fp_denorm_src 0
		.amdhsa_exception_fp_ieee_div_zero 0
		.amdhsa_exception_fp_ieee_overflow 0
		.amdhsa_exception_fp_ieee_underflow 0
		.amdhsa_exception_fp_ieee_inexact 0
		.amdhsa_exception_int_div_zero 0
	.end_amdhsa_kernel
	.section	.text._Z13bitPackKernelIymEvPKhPKT_PT0_S4_PKm,"axG",@progbits,_Z13bitPackKernelIymEvPKhPKT_PT0_S4_PKm,comdat
.Lfunc_end23:
	.size	_Z13bitPackKernelIymEvPKhPKT_PT0_S4_PKm, .Lfunc_end23-_Z13bitPackKernelIymEvPKhPKT_PT0_S4_PKm
                                        ; -- End function
	.set _Z13bitPackKernelIymEvPKhPKT_PT0_S4_PKm.num_vgpr, 30
	.set _Z13bitPackKernelIymEvPKhPKT_PT0_S4_PKm.num_agpr, 0
	.set _Z13bitPackKernelIymEvPKhPKT_PT0_S4_PKm.numbered_sgpr, 28
	.set _Z13bitPackKernelIymEvPKhPKT_PT0_S4_PKm.num_named_barrier, 0
	.set _Z13bitPackKernelIymEvPKhPKT_PT0_S4_PKm.private_seg_size, 0
	.set _Z13bitPackKernelIymEvPKhPKT_PT0_S4_PKm.uses_vcc, 1
	.set _Z13bitPackKernelIymEvPKhPKT_PT0_S4_PKm.uses_flat_scratch, 0
	.set _Z13bitPackKernelIymEvPKhPKT_PT0_S4_PKm.has_dyn_sized_stack, 0
	.set _Z13bitPackKernelIymEvPKhPKT_PT0_S4_PKm.has_recursion, 0
	.set _Z13bitPackKernelIymEvPKhPKT_PT0_S4_PKm.has_indirect_call, 0
	.section	.AMDGPU.csdata,"",@progbits
; Kernel info:
; codeLenInByte = 3404
; TotalNumSgprs: 30
; NumVgprs: 30
; ScratchSize: 0
; MemoryBound: 0
; FloatMode: 240
; IeeeMode: 1
; LDSByteSize: 2048 bytes/workgroup (compile time only)
; SGPRBlocks: 0
; VGPRBlocks: 1
; NumSGPRsForWavesPerEU: 30
; NumVGPRsForWavesPerEU: 30
; NamedBarCnt: 0
; Occupancy: 16
; WaveLimiterHint : 0
; COMPUTE_PGM_RSRC2:SCRATCH_EN: 0
; COMPUTE_PGM_RSRC2:USER_SGPR: 2
; COMPUTE_PGM_RSRC2:TRAP_HANDLER: 0
; COMPUTE_PGM_RSRC2:TGID_X_EN: 1
; COMPUTE_PGM_RSRC2:TGID_Y_EN: 0
; COMPUTE_PGM_RSRC2:TGID_Z_EN: 0
; COMPUTE_PGM_RSRC2:TIDIG_COMP_CNT: 0
	.section	.AMDGPU.gpr_maximums,"",@progbits
	.set amdgpu.max_num_vgpr, 0
	.set amdgpu.max_num_agpr, 0
	.set amdgpu.max_num_sgpr, 0
	.section	.AMDGPU.csdata,"",@progbits
	.type	__hip_cuid_763b80f220201e19,@object ; @__hip_cuid_763b80f220201e19
	.section	.bss,"aw",@nobits
	.globl	__hip_cuid_763b80f220201e19
__hip_cuid_763b80f220201e19:
	.byte	0                               ; 0x0
	.size	__hip_cuid_763b80f220201e19, 1

	.ident	"AMD clang version 22.0.0git (https://github.com/RadeonOpenCompute/llvm-project roc-7.2.4 26084 f58b06dce1f9c15707c5f808fd002e18c2accf7e)"
	.section	".note.GNU-stack","",@progbits
	.addrsig
	.addrsig_sym __hip_cuid_763b80f220201e19
	.amdgpu_metadata
---
amdhsa.kernels:
  - .args:
      - .address_space:  global
        .offset:         0
        .size:           8
        .value_kind:     global_buffer
      - .address_space:  global
        .offset:         8
        .size:           8
        .value_kind:     global_buffer
      - .address_space:  global
        .offset:         16
        .size:           8
        .value_kind:     global_buffer
      - .address_space:  global
        .offset:         24
        .size:           8
        .value_kind:     global_buffer
      - .offset:         32
        .size:           4
        .value_kind:     hidden_block_count_x
      - .offset:         36
        .size:           4
        .value_kind:     hidden_block_count_y
      - .offset:         40
        .size:           4
        .value_kind:     hidden_block_count_z
      - .offset:         44
        .size:           2
        .value_kind:     hidden_group_size_x
      - .offset:         46
        .size:           2
        .value_kind:     hidden_group_size_y
      - .offset:         48
        .size:           2
        .value_kind:     hidden_group_size_z
      - .offset:         50
        .size:           2
        .value_kind:     hidden_remainder_x
      - .offset:         52
        .size:           2
        .value_kind:     hidden_remainder_y
      - .offset:         54
        .size:           2
        .value_kind:     hidden_remainder_z
      - .offset:         72
        .size:           8
        .value_kind:     hidden_global_offset_x
      - .offset:         80
        .size:           8
        .value_kind:     hidden_global_offset_y
      - .offset:         88
        .size:           8
        .value_kind:     hidden_global_offset_z
      - .offset:         96
        .size:           2
        .value_kind:     hidden_grid_dims
    .group_segment_fixed_size: 512
    .kernarg_segment_align: 8
    .kernarg_segment_size: 288
    .language:       OpenCL C
    .language_version:
      - 2
      - 0
    .max_flat_workgroup_size: 1024
    .name:           _Z23bitPackConfigScanKernelIccEvPT_S1_PKT0_PKm
    .private_segment_fixed_size: 0
    .sgpr_count:     17
    .sgpr_spill_count: 0
    .symbol:         _Z23bitPackConfigScanKernelIccEvPT_S1_PKT0_PKm.kd
    .uniform_work_group_size: 1
    .uses_dynamic_stack: false
    .vgpr_count:     5
    .vgpr_spill_count: 0
    .wavefront_size: 32
  - .args:
      - .address_space:  global
        .offset:         0
        .size:           8
        .value_kind:     global_buffer
      - .address_space:  global
        .offset:         8
        .size:           8
        .value_kind:     global_buffer
      - .address_space:  global
        .offset:         16
        .size:           8
        .value_kind:     global_buffer
      - .address_space:  global
        .offset:         24
        .size:           8
        .value_kind:     global_buffer
      - .address_space:  global
        .offset:         32
        .size:           8
        .value_kind:     global_buffer
    .group_segment_fixed_size: 512
    .kernarg_segment_align: 8
    .kernarg_segment_size: 40
    .language:       OpenCL C
    .language_version:
      - 2
      - 0
    .max_flat_workgroup_size: 1024
    .name:           _Z27bitPackConfigFinalizeKernelIccEvPKT_S2_PhPT0_PKm
    .private_segment_fixed_size: 0
    .sgpr_count:     15
    .sgpr_spill_count: 0
    .symbol:         _Z27bitPackConfigFinalizeKernelIccEvPKT_S2_PhPT0_PKm.kd
    .uniform_work_group_size: 1
    .uses_dynamic_stack: false
    .vgpr_count:     14
    .vgpr_spill_count: 0
    .wavefront_size: 32
  - .args:
      - .address_space:  global
        .offset:         0
        .size:           8
        .value_kind:     global_buffer
      - .address_space:  global
        .offset:         8
        .size:           8
        .value_kind:     global_buffer
      - .address_space:  global
        .offset:         16
        .size:           8
        .value_kind:     global_buffer
      - .address_space:  global
        .offset:         24
        .size:           8
        .value_kind:     global_buffer
      - .address_space:  global
        .offset:         32
        .size:           8
        .value_kind:     global_buffer
      - .offset:         40
        .size:           4
        .value_kind:     hidden_block_count_x
      - .offset:         44
        .size:           4
        .value_kind:     hidden_block_count_y
      - .offset:         48
        .size:           4
        .value_kind:     hidden_block_count_z
      - .offset:         52
        .size:           2
        .value_kind:     hidden_group_size_x
      - .offset:         54
        .size:           2
        .value_kind:     hidden_group_size_y
      - .offset:         56
        .size:           2
        .value_kind:     hidden_group_size_z
      - .offset:         58
        .size:           2
        .value_kind:     hidden_remainder_x
      - .offset:         60
        .size:           2
        .value_kind:     hidden_remainder_y
      - .offset:         62
        .size:           2
        .value_kind:     hidden_remainder_z
      - .offset:         80
        .size:           8
        .value_kind:     hidden_global_offset_x
      - .offset:         88
        .size:           8
        .value_kind:     hidden_global_offset_y
      - .offset:         96
        .size:           8
        .value_kind:     hidden_global_offset_z
      - .offset:         104
        .size:           2
        .value_kind:     hidden_grid_dims
    .group_segment_fixed_size: 256
    .kernarg_segment_align: 8
    .kernarg_segment_size: 296
    .language:       OpenCL C
    .language_version:
      - 2
      - 0
    .max_flat_workgroup_size: 1024
    .name:           _Z13bitPackKernelIcjEvPKhPKT_PT0_S4_PKm
    .private_segment_fixed_size: 0
    .sgpr_count:     28
    .sgpr_spill_count: 0
    .symbol:         _Z13bitPackKernelIcjEvPKhPKT_PT0_S4_PKm.kd
    .uniform_work_group_size: 1
    .uses_dynamic_stack: false
    .vgpr_count:     33
    .vgpr_spill_count: 0
    .wavefront_size: 32
  - .args:
      - .address_space:  global
        .offset:         0
        .size:           8
        .value_kind:     global_buffer
      - .address_space:  global
        .offset:         8
        .size:           8
        .value_kind:     global_buffer
      - .address_space:  global
        .offset:         16
        .size:           8
        .value_kind:     global_buffer
      - .address_space:  global
        .offset:         24
        .size:           8
        .value_kind:     global_buffer
      - .offset:         32
        .size:           4
        .value_kind:     hidden_block_count_x
      - .offset:         36
        .size:           4
        .value_kind:     hidden_block_count_y
      - .offset:         40
        .size:           4
        .value_kind:     hidden_block_count_z
      - .offset:         44
        .size:           2
        .value_kind:     hidden_group_size_x
      - .offset:         46
        .size:           2
        .value_kind:     hidden_group_size_y
      - .offset:         48
        .size:           2
        .value_kind:     hidden_group_size_z
      - .offset:         50
        .size:           2
        .value_kind:     hidden_remainder_x
      - .offset:         52
        .size:           2
        .value_kind:     hidden_remainder_y
      - .offset:         54
        .size:           2
        .value_kind:     hidden_remainder_z
      - .offset:         72
        .size:           8
        .value_kind:     hidden_global_offset_x
      - .offset:         80
        .size:           8
        .value_kind:     hidden_global_offset_y
      - .offset:         88
        .size:           8
        .value_kind:     hidden_global_offset_z
      - .offset:         96
        .size:           2
        .value_kind:     hidden_grid_dims
    .group_segment_fixed_size: 512
    .kernarg_segment_align: 8
    .kernarg_segment_size: 288
    .language:       OpenCL C
    .language_version:
      - 2
      - 0
    .max_flat_workgroup_size: 1024
    .name:           _Z23bitPackConfigScanKernelIhhEvPT_S1_PKT0_PKm
    .private_segment_fixed_size: 0
    .sgpr_count:     17
    .sgpr_spill_count: 0
    .symbol:         _Z23bitPackConfigScanKernelIhhEvPT_S1_PKT0_PKm.kd
    .uniform_work_group_size: 1
    .uses_dynamic_stack: false
    .vgpr_count:     5
    .vgpr_spill_count: 0
    .wavefront_size: 32
  - .args:
      - .address_space:  global
        .offset:         0
        .size:           8
        .value_kind:     global_buffer
      - .address_space:  global
        .offset:         8
        .size:           8
        .value_kind:     global_buffer
      - .address_space:  global
        .offset:         16
        .size:           8
        .value_kind:     global_buffer
      - .address_space:  global
        .offset:         24
        .size:           8
        .value_kind:     global_buffer
      - .address_space:  global
        .offset:         32
        .size:           8
        .value_kind:     global_buffer
    .group_segment_fixed_size: 512
    .kernarg_segment_align: 8
    .kernarg_segment_size: 40
    .language:       OpenCL C
    .language_version:
      - 2
      - 0
    .max_flat_workgroup_size: 1024
    .name:           _Z27bitPackConfigFinalizeKernelIhhEvPKT_S2_PhPT0_PKm
    .private_segment_fixed_size: 0
    .sgpr_count:     15
    .sgpr_spill_count: 0
    .symbol:         _Z27bitPackConfigFinalizeKernelIhhEvPKT_S2_PhPT0_PKm.kd
    .uniform_work_group_size: 1
    .uses_dynamic_stack: false
    .vgpr_count:     14
    .vgpr_spill_count: 0
    .wavefront_size: 32
  - .args:
      - .address_space:  global
        .offset:         0
        .size:           8
        .value_kind:     global_buffer
      - .address_space:  global
        .offset:         8
        .size:           8
        .value_kind:     global_buffer
      - .address_space:  global
        .offset:         16
        .size:           8
        .value_kind:     global_buffer
      - .address_space:  global
        .offset:         24
        .size:           8
        .value_kind:     global_buffer
      - .address_space:  global
        .offset:         32
        .size:           8
        .value_kind:     global_buffer
      - .offset:         40
        .size:           4
        .value_kind:     hidden_block_count_x
      - .offset:         44
        .size:           4
        .value_kind:     hidden_block_count_y
      - .offset:         48
        .size:           4
        .value_kind:     hidden_block_count_z
      - .offset:         52
        .size:           2
        .value_kind:     hidden_group_size_x
      - .offset:         54
        .size:           2
        .value_kind:     hidden_group_size_y
      - .offset:         56
        .size:           2
        .value_kind:     hidden_group_size_z
      - .offset:         58
        .size:           2
        .value_kind:     hidden_remainder_x
      - .offset:         60
        .size:           2
        .value_kind:     hidden_remainder_y
      - .offset:         62
        .size:           2
        .value_kind:     hidden_remainder_z
      - .offset:         80
        .size:           8
        .value_kind:     hidden_global_offset_x
      - .offset:         88
        .size:           8
        .value_kind:     hidden_global_offset_y
      - .offset:         96
        .size:           8
        .value_kind:     hidden_global_offset_z
      - .offset:         104
        .size:           2
        .value_kind:     hidden_grid_dims
    .group_segment_fixed_size: 256
    .kernarg_segment_align: 8
    .kernarg_segment_size: 296
    .language:       OpenCL C
    .language_version:
      - 2
      - 0
    .max_flat_workgroup_size: 1024
    .name:           _Z13bitPackKernelIhjEvPKhPKT_PT0_S4_PKm
    .private_segment_fixed_size: 0
    .sgpr_count:     28
    .sgpr_spill_count: 0
    .symbol:         _Z13bitPackKernelIhjEvPKhPKT_PT0_S4_PKm.kd
    .uniform_work_group_size: 1
    .uses_dynamic_stack: false
    .vgpr_count:     33
    .vgpr_spill_count: 0
    .wavefront_size: 32
  - .args:
      - .address_space:  global
        .offset:         0
        .size:           8
        .value_kind:     global_buffer
      - .address_space:  global
        .offset:         8
        .size:           8
        .value_kind:     global_buffer
      - .address_space:  global
        .offset:         16
        .size:           8
        .value_kind:     global_buffer
      - .address_space:  global
        .offset:         24
        .size:           8
        .value_kind:     global_buffer
      - .offset:         32
        .size:           4
        .value_kind:     hidden_block_count_x
      - .offset:         36
        .size:           4
        .value_kind:     hidden_block_count_y
      - .offset:         40
        .size:           4
        .value_kind:     hidden_block_count_z
      - .offset:         44
        .size:           2
        .value_kind:     hidden_group_size_x
      - .offset:         46
        .size:           2
        .value_kind:     hidden_group_size_y
      - .offset:         48
        .size:           2
        .value_kind:     hidden_group_size_z
      - .offset:         50
        .size:           2
        .value_kind:     hidden_remainder_x
      - .offset:         52
        .size:           2
        .value_kind:     hidden_remainder_y
      - .offset:         54
        .size:           2
        .value_kind:     hidden_remainder_z
      - .offset:         72
        .size:           8
        .value_kind:     hidden_global_offset_x
      - .offset:         80
        .size:           8
        .value_kind:     hidden_global_offset_y
      - .offset:         88
        .size:           8
        .value_kind:     hidden_global_offset_z
      - .offset:         96
        .size:           2
        .value_kind:     hidden_grid_dims
    .group_segment_fixed_size: 1024
    .kernarg_segment_align: 8
    .kernarg_segment_size: 288
    .language:       OpenCL C
    .language_version:
      - 2
      - 0
    .max_flat_workgroup_size: 1024
    .name:           _Z23bitPackConfigScanKernelIssEvPT_S1_PKT0_PKm
    .private_segment_fixed_size: 0
    .sgpr_count:     17
    .sgpr_spill_count: 0
    .symbol:         _Z23bitPackConfigScanKernelIssEvPT_S1_PKT0_PKm.kd
    .uniform_work_group_size: 1
    .uses_dynamic_stack: false
    .vgpr_count:     6
    .vgpr_spill_count: 0
    .wavefront_size: 32
  - .args:
      - .address_space:  global
        .offset:         0
        .size:           8
        .value_kind:     global_buffer
      - .address_space:  global
        .offset:         8
        .size:           8
        .value_kind:     global_buffer
      - .address_space:  global
        .offset:         16
        .size:           8
        .value_kind:     global_buffer
      - .address_space:  global
        .offset:         24
        .size:           8
        .value_kind:     global_buffer
      - .address_space:  global
        .offset:         32
        .size:           8
        .value_kind:     global_buffer
    .group_segment_fixed_size: 1024
    .kernarg_segment_align: 8
    .kernarg_segment_size: 40
    .language:       OpenCL C
    .language_version:
      - 2
      - 0
    .max_flat_workgroup_size: 1024
    .name:           _Z27bitPackConfigFinalizeKernelIssEvPKT_S2_PhPT0_PKm
    .private_segment_fixed_size: 0
    .sgpr_count:     14
    .sgpr_spill_count: 0
    .symbol:         _Z27bitPackConfigFinalizeKernelIssEvPKT_S2_PhPT0_PKm.kd
    .uniform_work_group_size: 1
    .uses_dynamic_stack: false
    .vgpr_count:     14
    .vgpr_spill_count: 0
    .wavefront_size: 32
  - .args:
      - .address_space:  global
        .offset:         0
        .size:           8
        .value_kind:     global_buffer
      - .address_space:  global
        .offset:         8
        .size:           8
        .value_kind:     global_buffer
      - .address_space:  global
        .offset:         16
        .size:           8
        .value_kind:     global_buffer
      - .address_space:  global
        .offset:         24
        .size:           8
        .value_kind:     global_buffer
      - .address_space:  global
        .offset:         32
        .size:           8
        .value_kind:     global_buffer
      - .offset:         40
        .size:           4
        .value_kind:     hidden_block_count_x
      - .offset:         44
        .size:           4
        .value_kind:     hidden_block_count_y
      - .offset:         48
        .size:           4
        .value_kind:     hidden_block_count_z
      - .offset:         52
        .size:           2
        .value_kind:     hidden_group_size_x
      - .offset:         54
        .size:           2
        .value_kind:     hidden_group_size_y
      - .offset:         56
        .size:           2
        .value_kind:     hidden_group_size_z
      - .offset:         58
        .size:           2
        .value_kind:     hidden_remainder_x
      - .offset:         60
        .size:           2
        .value_kind:     hidden_remainder_y
      - .offset:         62
        .size:           2
        .value_kind:     hidden_remainder_z
      - .offset:         80
        .size:           8
        .value_kind:     hidden_global_offset_x
      - .offset:         88
        .size:           8
        .value_kind:     hidden_global_offset_y
      - .offset:         96
        .size:           8
        .value_kind:     hidden_global_offset_z
      - .offset:         104
        .size:           2
        .value_kind:     hidden_grid_dims
    .group_segment_fixed_size: 512
    .kernarg_segment_align: 8
    .kernarg_segment_size: 296
    .language:       OpenCL C
    .language_version:
      - 2
      - 0
    .max_flat_workgroup_size: 1024
    .name:           _Z13bitPackKernelIsjEvPKhPKT_PT0_S4_PKm
    .private_segment_fixed_size: 0
    .sgpr_count:     28
    .sgpr_spill_count: 0
    .symbol:         _Z13bitPackKernelIsjEvPKhPKT_PT0_S4_PKm.kd
    .uniform_work_group_size: 1
    .uses_dynamic_stack: false
    .vgpr_count:     35
    .vgpr_spill_count: 0
    .wavefront_size: 32
  - .args:
      - .address_space:  global
        .offset:         0
        .size:           8
        .value_kind:     global_buffer
      - .address_space:  global
        .offset:         8
        .size:           8
        .value_kind:     global_buffer
      - .address_space:  global
        .offset:         16
        .size:           8
        .value_kind:     global_buffer
      - .address_space:  global
        .offset:         24
        .size:           8
        .value_kind:     global_buffer
      - .offset:         32
        .size:           4
        .value_kind:     hidden_block_count_x
      - .offset:         36
        .size:           4
        .value_kind:     hidden_block_count_y
      - .offset:         40
        .size:           4
        .value_kind:     hidden_block_count_z
      - .offset:         44
        .size:           2
        .value_kind:     hidden_group_size_x
      - .offset:         46
        .size:           2
        .value_kind:     hidden_group_size_y
      - .offset:         48
        .size:           2
        .value_kind:     hidden_group_size_z
      - .offset:         50
        .size:           2
        .value_kind:     hidden_remainder_x
      - .offset:         52
        .size:           2
        .value_kind:     hidden_remainder_y
      - .offset:         54
        .size:           2
        .value_kind:     hidden_remainder_z
      - .offset:         72
        .size:           8
        .value_kind:     hidden_global_offset_x
      - .offset:         80
        .size:           8
        .value_kind:     hidden_global_offset_y
      - .offset:         88
        .size:           8
        .value_kind:     hidden_global_offset_z
      - .offset:         96
        .size:           2
        .value_kind:     hidden_grid_dims
    .group_segment_fixed_size: 1024
    .kernarg_segment_align: 8
    .kernarg_segment_size: 288
    .language:       OpenCL C
    .language_version:
      - 2
      - 0
    .max_flat_workgroup_size: 1024
    .name:           _Z23bitPackConfigScanKernelIttEvPT_S1_PKT0_PKm
    .private_segment_fixed_size: 0
    .sgpr_count:     17
    .sgpr_spill_count: 0
    .symbol:         _Z23bitPackConfigScanKernelIttEvPT_S1_PKT0_PKm.kd
    .uniform_work_group_size: 1
    .uses_dynamic_stack: false
    .vgpr_count:     6
    .vgpr_spill_count: 0
    .wavefront_size: 32
  - .args:
      - .address_space:  global
        .offset:         0
        .size:           8
        .value_kind:     global_buffer
      - .address_space:  global
        .offset:         8
        .size:           8
        .value_kind:     global_buffer
      - .address_space:  global
        .offset:         16
        .size:           8
        .value_kind:     global_buffer
      - .address_space:  global
        .offset:         24
        .size:           8
        .value_kind:     global_buffer
      - .address_space:  global
        .offset:         32
        .size:           8
        .value_kind:     global_buffer
    .group_segment_fixed_size: 1024
    .kernarg_segment_align: 8
    .kernarg_segment_size: 40
    .language:       OpenCL C
    .language_version:
      - 2
      - 0
    .max_flat_workgroup_size: 1024
    .name:           _Z27bitPackConfigFinalizeKernelIttEvPKT_S2_PhPT0_PKm
    .private_segment_fixed_size: 0
    .sgpr_count:     14
    .sgpr_spill_count: 0
    .symbol:         _Z27bitPackConfigFinalizeKernelIttEvPKT_S2_PhPT0_PKm.kd
    .uniform_work_group_size: 1
    .uses_dynamic_stack: false
    .vgpr_count:     14
    .vgpr_spill_count: 0
    .wavefront_size: 32
  - .args:
      - .address_space:  global
        .offset:         0
        .size:           8
        .value_kind:     global_buffer
      - .address_space:  global
        .offset:         8
        .size:           8
        .value_kind:     global_buffer
      - .address_space:  global
        .offset:         16
        .size:           8
        .value_kind:     global_buffer
      - .address_space:  global
        .offset:         24
        .size:           8
        .value_kind:     global_buffer
      - .address_space:  global
        .offset:         32
        .size:           8
        .value_kind:     global_buffer
      - .offset:         40
        .size:           4
        .value_kind:     hidden_block_count_x
      - .offset:         44
        .size:           4
        .value_kind:     hidden_block_count_y
      - .offset:         48
        .size:           4
        .value_kind:     hidden_block_count_z
      - .offset:         52
        .size:           2
        .value_kind:     hidden_group_size_x
      - .offset:         54
        .size:           2
        .value_kind:     hidden_group_size_y
      - .offset:         56
        .size:           2
        .value_kind:     hidden_group_size_z
      - .offset:         58
        .size:           2
        .value_kind:     hidden_remainder_x
      - .offset:         60
        .size:           2
        .value_kind:     hidden_remainder_y
      - .offset:         62
        .size:           2
        .value_kind:     hidden_remainder_z
      - .offset:         80
        .size:           8
        .value_kind:     hidden_global_offset_x
      - .offset:         88
        .size:           8
        .value_kind:     hidden_global_offset_y
      - .offset:         96
        .size:           8
        .value_kind:     hidden_global_offset_z
      - .offset:         104
        .size:           2
        .value_kind:     hidden_grid_dims
    .group_segment_fixed_size: 512
    .kernarg_segment_align: 8
    .kernarg_segment_size: 296
    .language:       OpenCL C
    .language_version:
      - 2
      - 0
    .max_flat_workgroup_size: 1024
    .name:           _Z13bitPackKernelItjEvPKhPKT_PT0_S4_PKm
    .private_segment_fixed_size: 0
    .sgpr_count:     28
    .sgpr_spill_count: 0
    .symbol:         _Z13bitPackKernelItjEvPKhPKT_PT0_S4_PKm.kd
    .uniform_work_group_size: 1
    .uses_dynamic_stack: false
    .vgpr_count:     35
    .vgpr_spill_count: 0
    .wavefront_size: 32
  - .args:
      - .address_space:  global
        .offset:         0
        .size:           8
        .value_kind:     global_buffer
      - .address_space:  global
        .offset:         8
        .size:           8
        .value_kind:     global_buffer
      - .address_space:  global
        .offset:         16
        .size:           8
        .value_kind:     global_buffer
      - .address_space:  global
        .offset:         24
        .size:           8
        .value_kind:     global_buffer
      - .offset:         32
        .size:           4
        .value_kind:     hidden_block_count_x
      - .offset:         36
        .size:           4
        .value_kind:     hidden_block_count_y
      - .offset:         40
        .size:           4
        .value_kind:     hidden_block_count_z
      - .offset:         44
        .size:           2
        .value_kind:     hidden_group_size_x
      - .offset:         46
        .size:           2
        .value_kind:     hidden_group_size_y
      - .offset:         48
        .size:           2
        .value_kind:     hidden_group_size_z
      - .offset:         50
        .size:           2
        .value_kind:     hidden_remainder_x
      - .offset:         52
        .size:           2
        .value_kind:     hidden_remainder_y
      - .offset:         54
        .size:           2
        .value_kind:     hidden_remainder_z
      - .offset:         72
        .size:           8
        .value_kind:     hidden_global_offset_x
      - .offset:         80
        .size:           8
        .value_kind:     hidden_global_offset_y
      - .offset:         88
        .size:           8
        .value_kind:     hidden_global_offset_z
      - .offset:         96
        .size:           2
        .value_kind:     hidden_grid_dims
    .group_segment_fixed_size: 2048
    .kernarg_segment_align: 8
    .kernarg_segment_size: 288
    .language:       OpenCL C
    .language_version:
      - 2
      - 0
    .max_flat_workgroup_size: 1024
    .name:           _Z23bitPackConfigScanKernelIiiEvPT_S1_PKT0_PKm
    .private_segment_fixed_size: 0
    .sgpr_count:     17
    .sgpr_spill_count: 0
    .symbol:         _Z23bitPackConfigScanKernelIiiEvPT_S1_PKT0_PKm.kd
    .uniform_work_group_size: 1
    .uses_dynamic_stack: false
    .vgpr_count:     6
    .vgpr_spill_count: 0
    .wavefront_size: 32
  - .args:
      - .address_space:  global
        .offset:         0
        .size:           8
        .value_kind:     global_buffer
      - .address_space:  global
        .offset:         8
        .size:           8
        .value_kind:     global_buffer
      - .address_space:  global
        .offset:         16
        .size:           8
        .value_kind:     global_buffer
      - .address_space:  global
        .offset:         24
        .size:           8
        .value_kind:     global_buffer
      - .address_space:  global
        .offset:         32
        .size:           8
        .value_kind:     global_buffer
    .group_segment_fixed_size: 2048
    .kernarg_segment_align: 8
    .kernarg_segment_size: 40
    .language:       OpenCL C
    .language_version:
      - 2
      - 0
    .max_flat_workgroup_size: 1024
    .name:           _Z27bitPackConfigFinalizeKernelIiiEvPKT_S2_PhPT0_PKm
    .private_segment_fixed_size: 0
    .sgpr_count:     14
    .sgpr_spill_count: 0
    .symbol:         _Z27bitPackConfigFinalizeKernelIiiEvPKT_S2_PhPT0_PKm.kd
    .uniform_work_group_size: 1
    .uses_dynamic_stack: false
    .vgpr_count:     14
    .vgpr_spill_count: 0
    .wavefront_size: 32
  - .args:
      - .address_space:  global
        .offset:         0
        .size:           8
        .value_kind:     global_buffer
      - .address_space:  global
        .offset:         8
        .size:           8
        .value_kind:     global_buffer
      - .address_space:  global
        .offset:         16
        .size:           8
        .value_kind:     global_buffer
      - .address_space:  global
        .offset:         24
        .size:           8
        .value_kind:     global_buffer
      - .address_space:  global
        .offset:         32
        .size:           8
        .value_kind:     global_buffer
      - .offset:         40
        .size:           4
        .value_kind:     hidden_block_count_x
      - .offset:         44
        .size:           4
        .value_kind:     hidden_block_count_y
      - .offset:         48
        .size:           4
        .value_kind:     hidden_block_count_z
      - .offset:         52
        .size:           2
        .value_kind:     hidden_group_size_x
      - .offset:         54
        .size:           2
        .value_kind:     hidden_group_size_y
      - .offset:         56
        .size:           2
        .value_kind:     hidden_group_size_z
      - .offset:         58
        .size:           2
        .value_kind:     hidden_remainder_x
      - .offset:         60
        .size:           2
        .value_kind:     hidden_remainder_y
      - .offset:         62
        .size:           2
        .value_kind:     hidden_remainder_z
      - .offset:         80
        .size:           8
        .value_kind:     hidden_global_offset_x
      - .offset:         88
        .size:           8
        .value_kind:     hidden_global_offset_y
      - .offset:         96
        .size:           8
        .value_kind:     hidden_global_offset_z
      - .offset:         104
        .size:           2
        .value_kind:     hidden_grid_dims
    .group_segment_fixed_size: 1024
    .kernarg_segment_align: 8
    .kernarg_segment_size: 296
    .language:       OpenCL C
    .language_version:
      - 2
      - 0
    .max_flat_workgroup_size: 1024
    .name:           _Z13bitPackKernelIijEvPKhPKT_PT0_S4_PKm
    .private_segment_fixed_size: 0
    .sgpr_count:     30
    .sgpr_spill_count: 0
    .symbol:         _Z13bitPackKernelIijEvPKhPKT_PT0_S4_PKm.kd
    .uniform_work_group_size: 1
    .uses_dynamic_stack: false
    .vgpr_count:     34
    .vgpr_spill_count: 0
    .wavefront_size: 32
  - .args:
      - .address_space:  global
        .offset:         0
        .size:           8
        .value_kind:     global_buffer
      - .address_space:  global
        .offset:         8
        .size:           8
        .value_kind:     global_buffer
      - .address_space:  global
        .offset:         16
        .size:           8
        .value_kind:     global_buffer
      - .address_space:  global
        .offset:         24
        .size:           8
        .value_kind:     global_buffer
      - .offset:         32
        .size:           4
        .value_kind:     hidden_block_count_x
      - .offset:         36
        .size:           4
        .value_kind:     hidden_block_count_y
      - .offset:         40
        .size:           4
        .value_kind:     hidden_block_count_z
      - .offset:         44
        .size:           2
        .value_kind:     hidden_group_size_x
      - .offset:         46
        .size:           2
        .value_kind:     hidden_group_size_y
      - .offset:         48
        .size:           2
        .value_kind:     hidden_group_size_z
      - .offset:         50
        .size:           2
        .value_kind:     hidden_remainder_x
      - .offset:         52
        .size:           2
        .value_kind:     hidden_remainder_y
      - .offset:         54
        .size:           2
        .value_kind:     hidden_remainder_z
      - .offset:         72
        .size:           8
        .value_kind:     hidden_global_offset_x
      - .offset:         80
        .size:           8
        .value_kind:     hidden_global_offset_y
      - .offset:         88
        .size:           8
        .value_kind:     hidden_global_offset_z
      - .offset:         96
        .size:           2
        .value_kind:     hidden_grid_dims
    .group_segment_fixed_size: 2048
    .kernarg_segment_align: 8
    .kernarg_segment_size: 288
    .language:       OpenCL C
    .language_version:
      - 2
      - 0
    .max_flat_workgroup_size: 1024
    .name:           _Z23bitPackConfigScanKernelIjjEvPT_S1_PKT0_PKm
    .private_segment_fixed_size: 0
    .sgpr_count:     17
    .sgpr_spill_count: 0
    .symbol:         _Z23bitPackConfigScanKernelIjjEvPT_S1_PKT0_PKm.kd
    .uniform_work_group_size: 1
    .uses_dynamic_stack: false
    .vgpr_count:     6
    .vgpr_spill_count: 0
    .wavefront_size: 32
  - .args:
      - .address_space:  global
        .offset:         0
        .size:           8
        .value_kind:     global_buffer
      - .address_space:  global
        .offset:         8
        .size:           8
        .value_kind:     global_buffer
      - .address_space:  global
        .offset:         16
        .size:           8
        .value_kind:     global_buffer
      - .address_space:  global
        .offset:         24
        .size:           8
        .value_kind:     global_buffer
      - .address_space:  global
        .offset:         32
        .size:           8
        .value_kind:     global_buffer
    .group_segment_fixed_size: 2048
    .kernarg_segment_align: 8
    .kernarg_segment_size: 40
    .language:       OpenCL C
    .language_version:
      - 2
      - 0
    .max_flat_workgroup_size: 1024
    .name:           _Z27bitPackConfigFinalizeKernelIjjEvPKT_S2_PhPT0_PKm
    .private_segment_fixed_size: 0
    .sgpr_count:     14
    .sgpr_spill_count: 0
    .symbol:         _Z27bitPackConfigFinalizeKernelIjjEvPKT_S2_PhPT0_PKm.kd
    .uniform_work_group_size: 1
    .uses_dynamic_stack: false
    .vgpr_count:     14
    .vgpr_spill_count: 0
    .wavefront_size: 32
  - .args:
      - .address_space:  global
        .offset:         0
        .size:           8
        .value_kind:     global_buffer
      - .address_space:  global
        .offset:         8
        .size:           8
        .value_kind:     global_buffer
      - .address_space:  global
        .offset:         16
        .size:           8
        .value_kind:     global_buffer
      - .address_space:  global
        .offset:         24
        .size:           8
        .value_kind:     global_buffer
      - .address_space:  global
        .offset:         32
        .size:           8
        .value_kind:     global_buffer
      - .offset:         40
        .size:           4
        .value_kind:     hidden_block_count_x
      - .offset:         44
        .size:           4
        .value_kind:     hidden_block_count_y
      - .offset:         48
        .size:           4
        .value_kind:     hidden_block_count_z
      - .offset:         52
        .size:           2
        .value_kind:     hidden_group_size_x
      - .offset:         54
        .size:           2
        .value_kind:     hidden_group_size_y
      - .offset:         56
        .size:           2
        .value_kind:     hidden_group_size_z
      - .offset:         58
        .size:           2
        .value_kind:     hidden_remainder_x
      - .offset:         60
        .size:           2
        .value_kind:     hidden_remainder_y
      - .offset:         62
        .size:           2
        .value_kind:     hidden_remainder_z
      - .offset:         80
        .size:           8
        .value_kind:     hidden_global_offset_x
      - .offset:         88
        .size:           8
        .value_kind:     hidden_global_offset_y
      - .offset:         96
        .size:           8
        .value_kind:     hidden_global_offset_z
      - .offset:         104
        .size:           2
        .value_kind:     hidden_grid_dims
    .group_segment_fixed_size: 1024
    .kernarg_segment_align: 8
    .kernarg_segment_size: 296
    .language:       OpenCL C
    .language_version:
      - 2
      - 0
    .max_flat_workgroup_size: 1024
    .name:           _Z13bitPackKernelIjjEvPKhPKT_PT0_S4_PKm
    .private_segment_fixed_size: 0
    .sgpr_count:     30
    .sgpr_spill_count: 0
    .symbol:         _Z13bitPackKernelIjjEvPKhPKT_PT0_S4_PKm.kd
    .uniform_work_group_size: 1
    .uses_dynamic_stack: false
    .vgpr_count:     34
    .vgpr_spill_count: 0
    .wavefront_size: 32
  - .args:
      - .address_space:  global
        .offset:         0
        .size:           8
        .value_kind:     global_buffer
      - .address_space:  global
        .offset:         8
        .size:           8
        .value_kind:     global_buffer
      - .address_space:  global
        .offset:         16
        .size:           8
        .value_kind:     global_buffer
      - .address_space:  global
        .offset:         24
        .size:           8
        .value_kind:     global_buffer
      - .offset:         32
        .size:           4
        .value_kind:     hidden_block_count_x
      - .offset:         36
        .size:           4
        .value_kind:     hidden_block_count_y
      - .offset:         40
        .size:           4
        .value_kind:     hidden_block_count_z
      - .offset:         44
        .size:           2
        .value_kind:     hidden_group_size_x
      - .offset:         46
        .size:           2
        .value_kind:     hidden_group_size_y
      - .offset:         48
        .size:           2
        .value_kind:     hidden_group_size_z
      - .offset:         50
        .size:           2
        .value_kind:     hidden_remainder_x
      - .offset:         52
        .size:           2
        .value_kind:     hidden_remainder_y
      - .offset:         54
        .size:           2
        .value_kind:     hidden_remainder_z
      - .offset:         72
        .size:           8
        .value_kind:     hidden_global_offset_x
      - .offset:         80
        .size:           8
        .value_kind:     hidden_global_offset_y
      - .offset:         88
        .size:           8
        .value_kind:     hidden_global_offset_z
      - .offset:         96
        .size:           2
        .value_kind:     hidden_grid_dims
    .group_segment_fixed_size: 4096
    .kernarg_segment_align: 8
    .kernarg_segment_size: 288
    .language:       OpenCL C
    .language_version:
      - 2
      - 0
    .max_flat_workgroup_size: 1024
    .name:           _Z23bitPackConfigScanKernelIxxEvPT_S1_PKT0_PKm
    .private_segment_fixed_size: 0
    .sgpr_count:     17
    .sgpr_spill_count: 0
    .symbol:         _Z23bitPackConfigScanKernelIxxEvPT_S1_PKT0_PKm.kd
    .uniform_work_group_size: 1
    .uses_dynamic_stack: false
    .vgpr_count:     12
    .vgpr_spill_count: 0
    .wavefront_size: 32
  - .args:
      - .address_space:  global
        .offset:         0
        .size:           8
        .value_kind:     global_buffer
      - .address_space:  global
        .offset:         8
        .size:           8
        .value_kind:     global_buffer
      - .address_space:  global
        .offset:         16
        .size:           8
        .value_kind:     global_buffer
      - .address_space:  global
        .offset:         24
        .size:           8
        .value_kind:     global_buffer
      - .address_space:  global
        .offset:         32
        .size:           8
        .value_kind:     global_buffer
    .group_segment_fixed_size: 4096
    .kernarg_segment_align: 8
    .kernarg_segment_size: 40
    .language:       OpenCL C
    .language_version:
      - 2
      - 0
    .max_flat_workgroup_size: 1024
    .name:           _Z27bitPackConfigFinalizeKernelIxxEvPKT_S2_PhPT0_PKm
    .private_segment_fixed_size: 0
    .sgpr_count:     14
    .sgpr_spill_count: 0
    .symbol:         _Z27bitPackConfigFinalizeKernelIxxEvPKT_S2_PhPT0_PKm.kd
    .uniform_work_group_size: 1
    .uses_dynamic_stack: false
    .vgpr_count:     18
    .vgpr_spill_count: 0
    .wavefront_size: 32
  - .args:
      - .address_space:  global
        .offset:         0
        .size:           8
        .value_kind:     global_buffer
      - .address_space:  global
        .offset:         8
        .size:           8
        .value_kind:     global_buffer
      - .address_space:  global
        .offset:         16
        .size:           8
        .value_kind:     global_buffer
      - .address_space:  global
        .offset:         24
        .size:           8
        .value_kind:     global_buffer
      - .address_space:  global
        .offset:         32
        .size:           8
        .value_kind:     global_buffer
      - .offset:         40
        .size:           4
        .value_kind:     hidden_block_count_x
      - .offset:         44
        .size:           4
        .value_kind:     hidden_block_count_y
      - .offset:         48
        .size:           4
        .value_kind:     hidden_block_count_z
      - .offset:         52
        .size:           2
        .value_kind:     hidden_group_size_x
      - .offset:         54
        .size:           2
        .value_kind:     hidden_group_size_y
      - .offset:         56
        .size:           2
        .value_kind:     hidden_group_size_z
      - .offset:         58
        .size:           2
        .value_kind:     hidden_remainder_x
      - .offset:         60
        .size:           2
        .value_kind:     hidden_remainder_y
      - .offset:         62
        .size:           2
        .value_kind:     hidden_remainder_z
      - .offset:         80
        .size:           8
        .value_kind:     hidden_global_offset_x
      - .offset:         88
        .size:           8
        .value_kind:     hidden_global_offset_y
      - .offset:         96
        .size:           8
        .value_kind:     hidden_global_offset_z
      - .offset:         104
        .size:           2
        .value_kind:     hidden_grid_dims
    .group_segment_fixed_size: 2048
    .kernarg_segment_align: 8
    .kernarg_segment_size: 296
    .language:       OpenCL C
    .language_version:
      - 2
      - 0
    .max_flat_workgroup_size: 1024
    .name:           _Z13bitPackKernelIxmEvPKhPKT_PT0_S4_PKm
    .private_segment_fixed_size: 0
    .sgpr_count:     30
    .sgpr_spill_count: 0
    .symbol:         _Z13bitPackKernelIxmEvPKhPKT_PT0_S4_PKm.kd
    .uniform_work_group_size: 1
    .uses_dynamic_stack: false
    .vgpr_count:     30
    .vgpr_spill_count: 0
    .wavefront_size: 32
  - .args:
      - .address_space:  global
        .offset:         0
        .size:           8
        .value_kind:     global_buffer
      - .address_space:  global
        .offset:         8
        .size:           8
        .value_kind:     global_buffer
      - .address_space:  global
        .offset:         16
        .size:           8
        .value_kind:     global_buffer
      - .address_space:  global
        .offset:         24
        .size:           8
        .value_kind:     global_buffer
      - .offset:         32
        .size:           4
        .value_kind:     hidden_block_count_x
      - .offset:         36
        .size:           4
        .value_kind:     hidden_block_count_y
      - .offset:         40
        .size:           4
        .value_kind:     hidden_block_count_z
      - .offset:         44
        .size:           2
        .value_kind:     hidden_group_size_x
      - .offset:         46
        .size:           2
        .value_kind:     hidden_group_size_y
      - .offset:         48
        .size:           2
        .value_kind:     hidden_group_size_z
      - .offset:         50
        .size:           2
        .value_kind:     hidden_remainder_x
      - .offset:         52
        .size:           2
        .value_kind:     hidden_remainder_y
      - .offset:         54
        .size:           2
        .value_kind:     hidden_remainder_z
      - .offset:         72
        .size:           8
        .value_kind:     hidden_global_offset_x
      - .offset:         80
        .size:           8
        .value_kind:     hidden_global_offset_y
      - .offset:         88
        .size:           8
        .value_kind:     hidden_global_offset_z
      - .offset:         96
        .size:           2
        .value_kind:     hidden_grid_dims
    .group_segment_fixed_size: 4096
    .kernarg_segment_align: 8
    .kernarg_segment_size: 288
    .language:       OpenCL C
    .language_version:
      - 2
      - 0
    .max_flat_workgroup_size: 1024
    .name:           _Z23bitPackConfigScanKernelIyyEvPT_S1_PKT0_PKm
    .private_segment_fixed_size: 0
    .sgpr_count:     17
    .sgpr_spill_count: 0
    .symbol:         _Z23bitPackConfigScanKernelIyyEvPT_S1_PKT0_PKm.kd
    .uniform_work_group_size: 1
    .uses_dynamic_stack: false
    .vgpr_count:     12
    .vgpr_spill_count: 0
    .wavefront_size: 32
  - .args:
      - .address_space:  global
        .offset:         0
        .size:           8
        .value_kind:     global_buffer
      - .address_space:  global
        .offset:         8
        .size:           8
        .value_kind:     global_buffer
      - .address_space:  global
        .offset:         16
        .size:           8
        .value_kind:     global_buffer
      - .address_space:  global
        .offset:         24
        .size:           8
        .value_kind:     global_buffer
      - .address_space:  global
        .offset:         32
        .size:           8
        .value_kind:     global_buffer
    .group_segment_fixed_size: 4096
    .kernarg_segment_align: 8
    .kernarg_segment_size: 40
    .language:       OpenCL C
    .language_version:
      - 2
      - 0
    .max_flat_workgroup_size: 1024
    .name:           _Z27bitPackConfigFinalizeKernelIyyEvPKT_S2_PhPT0_PKm
    .private_segment_fixed_size: 0
    .sgpr_count:     14
    .sgpr_spill_count: 0
    .symbol:         _Z27bitPackConfigFinalizeKernelIyyEvPKT_S2_PhPT0_PKm.kd
    .uniform_work_group_size: 1
    .uses_dynamic_stack: false
    .vgpr_count:     18
    .vgpr_spill_count: 0
    .wavefront_size: 32
  - .args:
      - .address_space:  global
        .offset:         0
        .size:           8
        .value_kind:     global_buffer
      - .address_space:  global
        .offset:         8
        .size:           8
        .value_kind:     global_buffer
      - .address_space:  global
        .offset:         16
        .size:           8
        .value_kind:     global_buffer
      - .address_space:  global
        .offset:         24
        .size:           8
        .value_kind:     global_buffer
      - .address_space:  global
        .offset:         32
        .size:           8
        .value_kind:     global_buffer
      - .offset:         40
        .size:           4
        .value_kind:     hidden_block_count_x
      - .offset:         44
        .size:           4
        .value_kind:     hidden_block_count_y
      - .offset:         48
        .size:           4
        .value_kind:     hidden_block_count_z
      - .offset:         52
        .size:           2
        .value_kind:     hidden_group_size_x
      - .offset:         54
        .size:           2
        .value_kind:     hidden_group_size_y
      - .offset:         56
        .size:           2
        .value_kind:     hidden_group_size_z
      - .offset:         58
        .size:           2
        .value_kind:     hidden_remainder_x
      - .offset:         60
        .size:           2
        .value_kind:     hidden_remainder_y
      - .offset:         62
        .size:           2
        .value_kind:     hidden_remainder_z
      - .offset:         80
        .size:           8
        .value_kind:     hidden_global_offset_x
      - .offset:         88
        .size:           8
        .value_kind:     hidden_global_offset_y
      - .offset:         96
        .size:           8
        .value_kind:     hidden_global_offset_z
      - .offset:         104
        .size:           2
        .value_kind:     hidden_grid_dims
    .group_segment_fixed_size: 2048
    .kernarg_segment_align: 8
    .kernarg_segment_size: 296
    .language:       OpenCL C
    .language_version:
      - 2
      - 0
    .max_flat_workgroup_size: 1024
    .name:           _Z13bitPackKernelIymEvPKhPKT_PT0_S4_PKm
    .private_segment_fixed_size: 0
    .sgpr_count:     30
    .sgpr_spill_count: 0
    .symbol:         _Z13bitPackKernelIymEvPKhPKT_PT0_S4_PKm.kd
    .uniform_work_group_size: 1
    .uses_dynamic_stack: false
    .vgpr_count:     30
    .vgpr_spill_count: 0
    .wavefront_size: 32
amdhsa.target:   amdgcn-amd-amdhsa--gfx1250
amdhsa.version:
  - 1
  - 2
...

	.end_amdgpu_metadata
